;; amdgpu-corpus repo=zjin-lcf/HeCBench kind=compiled arch=gfx1100 opt=O3
	.text
	.amdgcn_target "amdgcn-amd-amdhsa--gfx1100"
	.amdhsa_code_object_version 6
	.protected	_Z19kernel_baseToNumberPcl ; -- Begin function _Z19kernel_baseToNumberPcl
	.globl	_Z19kernel_baseToNumberPcl
	.p2align	8
	.type	_Z19kernel_baseToNumberPcl,@function
_Z19kernel_baseToNumberPcl:             ; @_Z19kernel_baseToNumberPcl
; %bb.0:
	s_clause 0x1
	s_load_b32 s4, s[0:1], 0x1c
	s_load_b128 s[0:3], s[0:1], 0x0
	s_waitcnt lgkmcnt(0)
	s_and_b32 s4, s4, 0xffff
	s_delay_alu instid0(SALU_CYCLE_1) | instskip(SKIP_2) | instid1(VALU_DEP_1)
	v_mad_u64_u32 v[1:2], null, s15, s4, v[0:1]
	v_mov_b32_e32 v2, 0
	s_mov_b32 s4, exec_lo
	v_cmpx_gt_i64_e64 s[2:3], v[1:2]
	s_cbranch_execz .LBB0_53
; %bb.1:
	s_mov_b32 s4, 0
	s_branch .LBB0_3
.LBB0_2:                                ;   in Loop: Header=BB0_3 Depth=1
	s_or_b32 exec_lo, exec_lo, s6
	v_add_co_u32 v1, vcc_lo, 0x4000, v1
	v_add_co_ci_u32_e32 v2, vcc_lo, 0, v2, vcc_lo
	global_store_b8 v[3:4], v0, off
	v_cmp_le_i64_e32 vcc_lo, s[2:3], v[1:2]
	s_or_b32 s4, vcc_lo, s4
	s_delay_alu instid0(SALU_CYCLE_1)
	s_and_not1_b32 exec_lo, exec_lo, s4
	s_cbranch_execz .LBB0_53
.LBB0_3:                                ; =>This Inner Loop Header: Depth=1
	v_add_co_u32 v3, vcc_lo, s0, v1
	v_add_co_ci_u32_e32 v4, vcc_lo, s1, v2, vcc_lo
	s_mov_b32 s5, 0
	s_mov_b32 s6, exec_lo
                                        ; implicit-def: $vgpr0
	global_load_u8 v5, v[3:4], off
	s_waitcnt vmcnt(0)
	v_cmpx_lt_i16_e32 0x60, v5
	s_xor_b32 s6, exec_lo, s6
	s_cbranch_execnz .LBB0_6
; %bb.4:                                ;   in Loop: Header=BB0_3 Depth=1
	s_and_not1_saveexec_b32 s6, s6
	s_cbranch_execnz .LBB0_29
.LBB0_5:                                ;   in Loop: Header=BB0_3 Depth=1
	s_or_b32 exec_lo, exec_lo, s6
	s_and_saveexec_b32 s6, s5
	s_cbranch_execz .LBB0_2
	s_branch .LBB0_52
.LBB0_6:                                ;   in Loop: Header=BB0_3 Depth=1
	s_mov_b32 s7, 0
	s_mov_b32 s5, exec_lo
                                        ; implicit-def: $vgpr0
	v_cmpx_lt_i16_e32 0x66, v5
	s_xor_b32 s5, exec_lo, s5
	s_cbranch_execz .LBB0_20
; %bb.7:                                ;   in Loop: Header=BB0_3 Depth=1
	s_mov_b32 s8, 0
	s_mov_b32 s7, exec_lo
                                        ; implicit-def: $vgpr0
	v_cmpx_lt_i16_e32 0x73, v5
	s_xor_b32 s7, exec_lo, s7
	s_cbranch_execz .LBB0_15
; %bb.8:                                ;   in Loop: Header=BB0_3 Depth=1
	s_mov_b32 s10, exec_lo
                                        ; implicit-def: $sgpr9
	v_cmpx_lt_i16_e32 0x74, v5
	s_xor_b32 s10, exec_lo, s10
	s_cbranch_execz .LBB0_12
; %bb.9:                                ;   in Loop: Header=BB0_3 Depth=1
	s_mov_b32 s8, -1
	s_mov_b32 s11, exec_lo
                                        ; implicit-def: $sgpr9
	v_cmpx_eq_u16_e32 0x75, v5
; %bb.10:                               ;   in Loop: Header=BB0_3 Depth=1
	s_mov_b32 s9, 3
	s_xor_b32 s8, exec_lo, -1
; %bb.11:                               ;   in Loop: Header=BB0_3 Depth=1
	s_or_b32 exec_lo, exec_lo, s11
	s_delay_alu instid0(SALU_CYCLE_1)
	s_and_b32 s8, s8, exec_lo
.LBB0_12:                               ;   in Loop: Header=BB0_3 Depth=1
	s_or_saveexec_b32 s10, s10
	v_mov_b32_e32 v0, s9
	s_xor_b32 exec_lo, exec_lo, s10
; %bb.13:                               ;   in Loop: Header=BB0_3 Depth=1
	v_mov_b32_e32 v0, 3
; %bb.14:                               ;   in Loop: Header=BB0_3 Depth=1
	s_or_b32 exec_lo, exec_lo, s10
	s_delay_alu instid0(SALU_CYCLE_1)
	s_and_b32 s8, s8, exec_lo
                                        ; implicit-def: $vgpr5
.LBB0_15:                               ;   in Loop: Header=BB0_3 Depth=1
	s_and_not1_saveexec_b32 s7, s7
	s_cbranch_execz .LBB0_19
; %bb.16:                               ;   in Loop: Header=BB0_3 Depth=1
	s_mov_b32 s9, -1
	s_mov_b32 s11, exec_lo
                                        ; implicit-def: $sgpr10
	v_cmpx_eq_u16_e32 0x67, v5
; %bb.17:                               ;   in Loop: Header=BB0_3 Depth=1
	s_mov_b32 s10, 2
	s_xor_b32 s9, exec_lo, -1
; %bb.18:                               ;   in Loop: Header=BB0_3 Depth=1
	s_or_b32 exec_lo, exec_lo, s11
	v_mov_b32_e32 v0, s10
	s_and_not1_b32 s8, s8, exec_lo
	s_and_b32 s9, s9, exec_lo
	s_delay_alu instid0(SALU_CYCLE_1)
	s_or_b32 s8, s8, s9
.LBB0_19:                               ;   in Loop: Header=BB0_3 Depth=1
	s_or_b32 exec_lo, exec_lo, s7
	s_delay_alu instid0(SALU_CYCLE_1)
	s_and_b32 s7, s8, exec_lo
                                        ; implicit-def: $vgpr5
.LBB0_20:                               ;   in Loop: Header=BB0_3 Depth=1
	s_and_not1_saveexec_b32 s5, s5
	s_cbranch_execz .LBB0_28
; %bb.21:                               ;   in Loop: Header=BB0_3 Depth=1
	s_mov_b32 s8, s7
	s_mov_b32 s10, exec_lo
                                        ; implicit-def: $sgpr9
	v_cmpx_lt_i16_e32 0x62, v5
	s_xor_b32 s10, exec_lo, s10
	s_cbranch_execz .LBB0_25
; %bb.22:                               ;   in Loop: Header=BB0_3 Depth=1
	s_mov_b32 s8, -1
	s_mov_b32 s11, exec_lo
                                        ; implicit-def: $sgpr9
	v_cmpx_eq_u16_e32 0x63, v5
; %bb.23:                               ;   in Loop: Header=BB0_3 Depth=1
	s_mov_b32 s9, 1
	s_xor_b32 s8, exec_lo, -1
; %bb.24:                               ;   in Loop: Header=BB0_3 Depth=1
	s_or_b32 exec_lo, exec_lo, s11
	s_delay_alu instid0(SALU_CYCLE_1) | instskip(SKIP_1) | instid1(SALU_CYCLE_1)
	s_and_not1_b32 s11, s7, exec_lo
	s_and_b32 s8, s8, exec_lo
                                        ; implicit-def: $vgpr5
	s_or_b32 s8, s11, s8
.LBB0_25:                               ;   in Loop: Header=BB0_3 Depth=1
	s_or_saveexec_b32 s10, s10
	v_mov_b32_e32 v0, s9
	s_xor_b32 exec_lo, exec_lo, s10
; %bb.26:                               ;   in Loop: Header=BB0_3 Depth=1
	v_cmp_ne_u16_e32 vcc_lo, 0x61, v5
	v_mov_b32_e32 v0, 0
	s_and_not1_b32 s8, s8, exec_lo
	s_and_b32 s9, vcc_lo, exec_lo
	s_delay_alu instid0(SALU_CYCLE_1)
	s_or_b32 s8, s8, s9
; %bb.27:                               ;   in Loop: Header=BB0_3 Depth=1
	s_or_b32 exec_lo, exec_lo, s10
	s_delay_alu instid0(SALU_CYCLE_1) | instskip(SKIP_1) | instid1(SALU_CYCLE_1)
	s_and_not1_b32 s7, s7, exec_lo
	s_and_b32 s8, s8, exec_lo
	s_or_b32 s7, s7, s8
.LBB0_28:                               ;   in Loop: Header=BB0_3 Depth=1
	s_or_b32 exec_lo, exec_lo, s5
	s_delay_alu instid0(SALU_CYCLE_1)
	s_and_b32 s5, s7, exec_lo
                                        ; implicit-def: $vgpr5
	s_and_not1_saveexec_b32 s6, s6
	s_cbranch_execz .LBB0_5
.LBB0_29:                               ;   in Loop: Header=BB0_3 Depth=1
	s_mov_b32 s8, s5
	s_mov_b32 s7, exec_lo
                                        ; implicit-def: $vgpr0
	v_cmpx_lt_i16_e32 0x46, v5
	s_xor_b32 s7, exec_lo, s7
	s_cbranch_execz .LBB0_43
; %bb.30:                               ;   in Loop: Header=BB0_3 Depth=1
	s_mov_b32 s9, s5
	s_mov_b32 s8, exec_lo
                                        ; implicit-def: $vgpr0
	v_cmpx_lt_i16_e32 0x53, v5
	s_xor_b32 s8, exec_lo, s8
	s_cbranch_execz .LBB0_38
; %bb.31:                               ;   in Loop: Header=BB0_3 Depth=1
	s_mov_b32 s11, s5
	s_mov_b32 s10, exec_lo
                                        ; implicit-def: $sgpr9
	v_cmpx_lt_i16_e32 0x54, v5
	s_xor_b32 s10, exec_lo, s10
	s_cbranch_execz .LBB0_35
; %bb.32:                               ;   in Loop: Header=BB0_3 Depth=1
	s_mov_b32 s11, -1
	s_mov_b32 s12, exec_lo
                                        ; implicit-def: $sgpr9
	v_cmpx_eq_u16_e32 0x55, v5
; %bb.33:                               ;   in Loop: Header=BB0_3 Depth=1
	s_mov_b32 s9, 3
	s_xor_b32 s11, exec_lo, -1
; %bb.34:                               ;   in Loop: Header=BB0_3 Depth=1
	s_or_b32 exec_lo, exec_lo, s12
	s_delay_alu instid0(SALU_CYCLE_1) | instskip(SKIP_1) | instid1(SALU_CYCLE_1)
	s_and_not1_b32 s12, s5, exec_lo
	s_and_b32 s11, s11, exec_lo
	s_or_b32 s11, s12, s11
.LBB0_35:                               ;   in Loop: Header=BB0_3 Depth=1
	s_or_saveexec_b32 s10, s10
	v_mov_b32_e32 v0, s9
	s_xor_b32 exec_lo, exec_lo, s10
; %bb.36:                               ;   in Loop: Header=BB0_3 Depth=1
	v_mov_b32_e32 v0, 3
; %bb.37:                               ;   in Loop: Header=BB0_3 Depth=1
	s_or_b32 exec_lo, exec_lo, s10
	s_delay_alu instid0(SALU_CYCLE_1) | instskip(SKIP_1) | instid1(SALU_CYCLE_1)
	s_and_not1_b32 s9, s5, exec_lo
	s_and_b32 s10, s11, exec_lo
                                        ; implicit-def: $vgpr5
	s_or_b32 s9, s9, s10
.LBB0_38:                               ;   in Loop: Header=BB0_3 Depth=1
	s_and_not1_saveexec_b32 s8, s8
	s_cbranch_execz .LBB0_42
; %bb.39:                               ;   in Loop: Header=BB0_3 Depth=1
	s_mov_b32 s10, -1
	s_mov_b32 s12, exec_lo
                                        ; implicit-def: $sgpr11
	v_cmpx_eq_u16_e32 0x47, v5
; %bb.40:                               ;   in Loop: Header=BB0_3 Depth=1
	s_mov_b32 s11, 2
	s_xor_b32 s10, exec_lo, -1
; %bb.41:                               ;   in Loop: Header=BB0_3 Depth=1
	s_or_b32 exec_lo, exec_lo, s12
	v_mov_b32_e32 v0, s11
	s_and_not1_b32 s9, s9, exec_lo
	s_and_b32 s10, s10, exec_lo
	s_delay_alu instid0(SALU_CYCLE_1)
	s_or_b32 s9, s9, s10
.LBB0_42:                               ;   in Loop: Header=BB0_3 Depth=1
	s_or_b32 exec_lo, exec_lo, s8
	s_delay_alu instid0(SALU_CYCLE_1) | instskip(SKIP_1) | instid1(SALU_CYCLE_1)
	s_and_not1_b32 s8, s5, exec_lo
	s_and_b32 s9, s9, exec_lo
                                        ; implicit-def: $vgpr5
	s_or_b32 s8, s8, s9
.LBB0_43:                               ;   in Loop: Header=BB0_3 Depth=1
	s_and_not1_saveexec_b32 s7, s7
	s_cbranch_execz .LBB0_51
; %bb.44:                               ;   in Loop: Header=BB0_3 Depth=1
	s_mov_b32 s9, s8
	s_mov_b32 s11, exec_lo
                                        ; implicit-def: $sgpr10
	v_cmpx_lt_i16_e32 0x42, v5
	s_xor_b32 s11, exec_lo, s11
	s_cbranch_execz .LBB0_48
; %bb.45:                               ;   in Loop: Header=BB0_3 Depth=1
	s_mov_b32 s9, -1
	s_mov_b32 s12, exec_lo
                                        ; implicit-def: $sgpr10
	v_cmpx_eq_u16_e32 0x43, v5
; %bb.46:                               ;   in Loop: Header=BB0_3 Depth=1
	s_mov_b32 s10, 1
	s_xor_b32 s9, exec_lo, -1
; %bb.47:                               ;   in Loop: Header=BB0_3 Depth=1
	s_or_b32 exec_lo, exec_lo, s12
	s_delay_alu instid0(SALU_CYCLE_1) | instskip(SKIP_1) | instid1(SALU_CYCLE_1)
	s_and_not1_b32 s12, s8, exec_lo
	s_and_b32 s9, s9, exec_lo
                                        ; implicit-def: $vgpr5
	s_or_b32 s9, s12, s9
.LBB0_48:                               ;   in Loop: Header=BB0_3 Depth=1
	s_or_saveexec_b32 s11, s11
	v_mov_b32_e32 v0, s10
	s_xor_b32 exec_lo, exec_lo, s11
; %bb.49:                               ;   in Loop: Header=BB0_3 Depth=1
	v_cmp_ne_u16_e32 vcc_lo, 0x41, v5
	v_mov_b32_e32 v0, 0
	s_and_not1_b32 s9, s9, exec_lo
	s_and_b32 s10, vcc_lo, exec_lo
	s_delay_alu instid0(SALU_CYCLE_1)
	s_or_b32 s9, s9, s10
; %bb.50:                               ;   in Loop: Header=BB0_3 Depth=1
	s_or_b32 exec_lo, exec_lo, s11
	s_delay_alu instid0(SALU_CYCLE_1) | instskip(SKIP_1) | instid1(SALU_CYCLE_1)
	s_and_not1_b32 s8, s8, exec_lo
	s_and_b32 s9, s9, exec_lo
	s_or_b32 s8, s8, s9
.LBB0_51:                               ;   in Loop: Header=BB0_3 Depth=1
	s_or_b32 exec_lo, exec_lo, s7
	s_delay_alu instid0(SALU_CYCLE_1) | instskip(SKIP_1) | instid1(SALU_CYCLE_1)
	s_and_not1_b32 s5, s5, exec_lo
	s_and_b32 s7, s8, exec_lo
	s_or_b32 s5, s5, s7
	s_or_b32 exec_lo, exec_lo, s6
	s_and_saveexec_b32 s6, s5
	s_cbranch_execz .LBB0_2
.LBB0_52:                               ;   in Loop: Header=BB0_3 Depth=1
	v_mov_b32_e32 v0, 4
	s_branch .LBB0_2
.LBB0_53:
	s_nop 0
	s_sendmsg sendmsg(MSG_DEALLOC_VGPRS)
	s_endpgm
	.section	.rodata,"a",@progbits
	.p2align	6, 0x0
	.amdhsa_kernel _Z19kernel_baseToNumberPcl
		.amdhsa_group_segment_fixed_size 0
		.amdhsa_private_segment_fixed_size 0
		.amdhsa_kernarg_size 272
		.amdhsa_user_sgpr_count 15
		.amdhsa_user_sgpr_dispatch_ptr 0
		.amdhsa_user_sgpr_queue_ptr 0
		.amdhsa_user_sgpr_kernarg_segment_ptr 1
		.amdhsa_user_sgpr_dispatch_id 0
		.amdhsa_user_sgpr_private_segment_size 0
		.amdhsa_wavefront_size32 1
		.amdhsa_uses_dynamic_stack 0
		.amdhsa_enable_private_segment 0
		.amdhsa_system_sgpr_workgroup_id_x 1
		.amdhsa_system_sgpr_workgroup_id_y 0
		.amdhsa_system_sgpr_workgroup_id_z 0
		.amdhsa_system_sgpr_workgroup_info 0
		.amdhsa_system_vgpr_workitem_id 0
		.amdhsa_next_free_vgpr 6
		.amdhsa_next_free_sgpr 16
		.amdhsa_reserve_vcc 1
		.amdhsa_float_round_mode_32 0
		.amdhsa_float_round_mode_16_64 0
		.amdhsa_float_denorm_mode_32 3
		.amdhsa_float_denorm_mode_16_64 3
		.amdhsa_dx10_clamp 1
		.amdhsa_ieee_mode 1
		.amdhsa_fp16_overflow 0
		.amdhsa_workgroup_processor_mode 1
		.amdhsa_memory_ordered 1
		.amdhsa_forward_progress 0
		.amdhsa_shared_vgpr_count 0
		.amdhsa_exception_fp_ieee_invalid_op 0
		.amdhsa_exception_fp_denorm_src 0
		.amdhsa_exception_fp_ieee_div_zero 0
		.amdhsa_exception_fp_ieee_overflow 0
		.amdhsa_exception_fp_ieee_underflow 0
		.amdhsa_exception_fp_ieee_inexact 0
		.amdhsa_exception_int_div_zero 0
	.end_amdhsa_kernel
	.text
.Lfunc_end0:
	.size	_Z19kernel_baseToNumberPcl, .Lfunc_end0-_Z19kernel_baseToNumberPcl
                                        ; -- End function
	.section	.AMDGPU.csdata,"",@progbits
; Kernel info:
; codeLenInByte = 964
; NumSgprs: 18
; NumVgprs: 6
; ScratchSize: 0
; MemoryBound: 0
; FloatMode: 240
; IeeeMode: 1
; LDSByteSize: 0 bytes/workgroup (compile time only)
; SGPRBlocks: 2
; VGPRBlocks: 0
; NumSGPRsForWavesPerEU: 18
; NumVGPRsForWavesPerEU: 6
; Occupancy: 16
; WaveLimiterHint : 0
; COMPUTE_PGM_RSRC2:SCRATCH_EN: 0
; COMPUTE_PGM_RSRC2:USER_SGPR: 15
; COMPUTE_PGM_RSRC2:TRAP_HANDLER: 0
; COMPUTE_PGM_RSRC2:TGID_X_EN: 1
; COMPUTE_PGM_RSRC2:TGID_Y_EN: 0
; COMPUTE_PGM_RSRC2:TGID_Z_EN: 0
; COMPUTE_PGM_RSRC2:TIDIG_COMP_CNT: 0
	.text
	.protected	_Z19kernel_compressDataPKiPKlPKcPjPii ; -- Begin function _Z19kernel_compressDataPKiPKlPKcPjPii
	.globl	_Z19kernel_compressDataPKiPKlPKcPjPii
	.p2align	8
	.type	_Z19kernel_compressDataPKiPKlPKcPjPii,@function
_Z19kernel_compressDataPKiPKlPKcPjPii:  ; @_Z19kernel_compressDataPKiPKlPKcPjPii
; %bb.0:
	s_clause 0x1
	s_load_b32 s2, s[0:1], 0x3c
	s_load_b32 s3, s[0:1], 0x28
	s_waitcnt lgkmcnt(0)
	s_and_b32 s2, s2, 0xffff
	s_delay_alu instid0(SALU_CYCLE_1) | instskip(SKIP_1) | instid1(VALU_DEP_1)
	v_mad_u64_u32 v[4:5], null, s15, s2, v[0:1]
	s_mov_b32 s2, exec_lo
	v_cmpx_gt_i32_e64 s3, v4
	s_cbranch_execz .LBB1_12
; %bb.1:
	s_load_b256 s[4:11], s[0:1], 0x0
	v_ashrrev_i32_e32 v5, 31, v4
	s_load_b64 s[0:1], s[0:1], 0x20
	v_dual_mov_b32 v8, 0 :: v_dual_mov_b32 v9, 0
	s_mov_b32 s3, 0
	s_delay_alu instid0(VALU_DEP_2) | instskip(SKIP_2) | instid1(VALU_DEP_1)
	v_lshlrev_b64 v[0:1], 3, v[4:5]
	s_mov_b32 s2, exec_lo
	s_waitcnt lgkmcnt(0)
	v_add_co_u32 v0, vcc_lo, s6, v0
	s_delay_alu instid0(VALU_DEP_2) | instskip(SKIP_2) | instid1(VALU_DEP_1)
	v_add_co_ci_u32_e32 v1, vcc_lo, s7, v1, vcc_lo
	global_load_b64 v[2:3], v[0:1], off
	v_lshlrev_b64 v[0:1], 2, v[4:5]
	v_add_co_u32 v4, vcc_lo, s4, v0
	s_delay_alu instid0(VALU_DEP_2) | instskip(SKIP_3) | instid1(VALU_DEP_1)
	v_add_co_ci_u32_e32 v5, vcc_lo, s5, v1, vcc_lo
	global_load_b32 v6, v[4:5], off
	s_waitcnt vmcnt(1)
	v_ashrrev_i32_e32 v4, 31, v3
	v_lshrrev_b32_e32 v4, 28, v4
	s_delay_alu instid0(VALU_DEP_1) | instskip(SKIP_1) | instid1(VALU_DEP_1)
	v_add_co_u32 v4, vcc_lo, v2, v4
	v_add_co_ci_u32_e32 v5, vcc_lo, 0, v3, vcc_lo
	v_ashrrev_i64 v[4:5], 4, v[4:5]
	s_waitcnt vmcnt(0)
	v_cmpx_lt_i32_e32 0, v6
	s_cbranch_execz .LBB1_11
; %bb.2:
	v_ashrrev_i32_e32 v7, 31, v6
	v_add_co_u32 v6, vcc_lo, v2, v6
	v_dual_mov_b32 v10, 0 :: v_dual_mov_b32 v9, 0
	s_delay_alu instid0(VALU_DEP_3)
	v_add_co_ci_u32_e32 v7, vcc_lo, v3, v7, vcc_lo
	v_mov_b32_e32 v8, 0
	s_set_inst_prefetch_distance 0x1
	s_branch .LBB1_5
	.p2align	6
.LBB1_3:                                ;   in Loop: Header=BB1_5 Depth=1
	s_or_b32 exec_lo, exec_lo, s5
.LBB1_4:                                ;   in Loop: Header=BB1_5 Depth=1
	s_delay_alu instid0(SALU_CYCLE_1) | instskip(SKIP_2) | instid1(VALU_DEP_1)
	s_or_b32 exec_lo, exec_lo, s4
	v_add_co_u32 v2, vcc_lo, v2, 1
	v_add_co_ci_u32_e32 v3, vcc_lo, 0, v3, vcc_lo
	v_cmp_ge_i64_e32 vcc_lo, v[2:3], v[6:7]
	s_or_b32 s3, vcc_lo, s3
	s_delay_alu instid0(SALU_CYCLE_1)
	s_and_not1_b32 exec_lo, exec_lo, s3
	s_cbranch_execz .LBB1_10
.LBB1_5:                                ; =>This Inner Loop Header: Depth=1
	v_add_co_u32 v11, vcc_lo, s8, v2
	v_add_co_ci_u32_e32 v12, vcc_lo, s9, v3, vcc_lo
	s_mov_b32 s4, exec_lo
	global_load_u8 v11, v[11:12], off
	s_waitcnt vmcnt(0)
	v_cmpx_lt_u16_e32 3, v11
	s_xor_b32 s4, exec_lo, s4
; %bb.6:                                ;   in Loop: Header=BB1_5 Depth=1
	v_add_nc_u32_e32 v9, 1, v9
                                        ; implicit-def: $vgpr11
; %bb.7:                                ;   in Loop: Header=BB1_5 Depth=1
	s_and_not1_saveexec_b32 s4, s4
	s_cbranch_execz .LBB1_4
; %bb.8:                                ;   in Loop: Header=BB1_5 Depth=1
	v_lshlrev_b32_e32 v12, 1, v10
	v_and_b32_e32 v11, 0xffff, v11
	v_add_nc_u32_e32 v10, 1, v10
	s_mov_b32 s5, exec_lo
	s_delay_alu instid0(VALU_DEP_3) | instskip(NEXT) | instid1(VALU_DEP_1)
	v_sub_nc_u32_e32 v12, 30, v12
	v_lshl_add_u32 v8, v11, v12, v8
	s_delay_alu instid0(VALU_DEP_3)
	v_cmpx_eq_u32_e32 16, v10
	s_cbranch_execz .LBB1_3
; %bb.9:                                ;   in Loop: Header=BB1_5 Depth=1
	v_lshlrev_b64 v[10:11], 2, v[4:5]
	v_add_co_u32 v4, vcc_lo, v4, 1
	v_add_co_ci_u32_e32 v5, vcc_lo, 0, v5, vcc_lo
	s_delay_alu instid0(VALU_DEP_3) | instskip(NEXT) | instid1(VALU_DEP_4)
	v_add_co_u32 v12, vcc_lo, s10, v10
	v_add_co_ci_u32_e32 v13, vcc_lo, s11, v11, vcc_lo
	v_mov_b32_e32 v10, 0
	global_store_b32 v[12:13], v8, off
	v_mov_b32_e32 v8, 0
	s_branch .LBB1_3
.LBB1_10:
	s_set_inst_prefetch_distance 0x2
	s_or_b32 exec_lo, exec_lo, s3
.LBB1_11:
	s_delay_alu instid0(SALU_CYCLE_1) | instskip(NEXT) | instid1(VALU_DEP_2)
	s_or_b32 exec_lo, exec_lo, s2
	v_lshlrev_b64 v[2:3], 2, v[4:5]
	s_delay_alu instid0(VALU_DEP_1) | instskip(NEXT) | instid1(VALU_DEP_2)
	v_add_co_u32 v2, vcc_lo, s10, v2
	v_add_co_ci_u32_e32 v3, vcc_lo, s11, v3, vcc_lo
	v_add_co_u32 v0, vcc_lo, s0, v0
	v_add_co_ci_u32_e32 v1, vcc_lo, s1, v1, vcc_lo
	global_store_b32 v[2:3], v8, off
	global_store_b32 v[0:1], v9, off
.LBB1_12:
	s_nop 0
	s_sendmsg sendmsg(MSG_DEALLOC_VGPRS)
	s_endpgm
	.section	.rodata,"a",@progbits
	.p2align	6, 0x0
	.amdhsa_kernel _Z19kernel_compressDataPKiPKlPKcPjPii
		.amdhsa_group_segment_fixed_size 0
		.amdhsa_private_segment_fixed_size 0
		.amdhsa_kernarg_size 304
		.amdhsa_user_sgpr_count 15
		.amdhsa_user_sgpr_dispatch_ptr 0
		.amdhsa_user_sgpr_queue_ptr 0
		.amdhsa_user_sgpr_kernarg_segment_ptr 1
		.amdhsa_user_sgpr_dispatch_id 0
		.amdhsa_user_sgpr_private_segment_size 0
		.amdhsa_wavefront_size32 1
		.amdhsa_uses_dynamic_stack 0
		.amdhsa_enable_private_segment 0
		.amdhsa_system_sgpr_workgroup_id_x 1
		.amdhsa_system_sgpr_workgroup_id_y 0
		.amdhsa_system_sgpr_workgroup_id_z 0
		.amdhsa_system_sgpr_workgroup_info 0
		.amdhsa_system_vgpr_workitem_id 0
		.amdhsa_next_free_vgpr 14
		.amdhsa_next_free_sgpr 16
		.amdhsa_reserve_vcc 1
		.amdhsa_float_round_mode_32 0
		.amdhsa_float_round_mode_16_64 0
		.amdhsa_float_denorm_mode_32 3
		.amdhsa_float_denorm_mode_16_64 3
		.amdhsa_dx10_clamp 1
		.amdhsa_ieee_mode 1
		.amdhsa_fp16_overflow 0
		.amdhsa_workgroup_processor_mode 1
		.amdhsa_memory_ordered 1
		.amdhsa_forward_progress 0
		.amdhsa_shared_vgpr_count 0
		.amdhsa_exception_fp_ieee_invalid_op 0
		.amdhsa_exception_fp_denorm_src 0
		.amdhsa_exception_fp_ieee_div_zero 0
		.amdhsa_exception_fp_ieee_overflow 0
		.amdhsa_exception_fp_ieee_underflow 0
		.amdhsa_exception_fp_ieee_inexact 0
		.amdhsa_exception_int_div_zero 0
	.end_amdhsa_kernel
	.text
.Lfunc_end1:
	.size	_Z19kernel_compressDataPKiPKlPKcPjPii, .Lfunc_end1-_Z19kernel_compressDataPKiPKlPKcPjPii
                                        ; -- End function
	.section	.AMDGPU.csdata,"",@progbits
; Kernel info:
; codeLenInByte = 532
; NumSgprs: 18
; NumVgprs: 14
; ScratchSize: 0
; MemoryBound: 0
; FloatMode: 240
; IeeeMode: 1
; LDSByteSize: 0 bytes/workgroup (compile time only)
; SGPRBlocks: 2
; VGPRBlocks: 1
; NumSGPRsForWavesPerEU: 18
; NumVGPRsForWavesPerEU: 14
; Occupancy: 16
; WaveLimiterHint : 0
; COMPUTE_PGM_RSRC2:SCRATCH_EN: 0
; COMPUTE_PGM_RSRC2:USER_SGPR: 15
; COMPUTE_PGM_RSRC2:TRAP_HANDLER: 0
; COMPUTE_PGM_RSRC2:TGID_X_EN: 1
; COMPUTE_PGM_RSRC2:TGID_Y_EN: 0
; COMPUTE_PGM_RSRC2:TGID_Z_EN: 0
; COMPUTE_PGM_RSRC2:TIDIG_COMP_CNT: 0
	.text
	.protected	_Z19kernel_createIndex4PKcPKiPKlPtS5_PlPii ; -- Begin function _Z19kernel_createIndex4PKcPKiPKlPtS5_PlPii
	.globl	_Z19kernel_createIndex4PKcPKiPKlPtS5_PlPii
	.p2align	8
	.type	_Z19kernel_createIndex4PKcPKiPKlPtS5_PlPii,@function
_Z19kernel_createIndex4PKcPKiPKlPtS5_PlPii: ; @_Z19kernel_createIndex4PKcPKiPKlPtS5_PlPii
; %bb.0:
	s_clause 0x1
	s_load_b32 s2, s[0:1], 0x4c
	s_load_b32 s3, s[0:1], 0x38
	s_waitcnt lgkmcnt(0)
	s_and_b32 s2, s2, 0xffff
	s_delay_alu instid0(SALU_CYCLE_1) | instskip(SKIP_1) | instid1(VALU_DEP_1)
	v_mad_u64_u32 v[4:5], null, s15, s2, v[0:1]
	s_mov_b32 s2, exec_lo
	v_cmpx_gt_i32_e64 s3, v4
	s_cbranch_execz .LBB2_20
; %bb.1:
	s_load_b256 s[4:11], s[0:1], 0x0
	v_ashrrev_i32_e32 v5, 31, v4
	v_dual_mov_b32 v7, 0 :: v_dual_mov_b32 v2, 0
	v_dual_mov_b32 v8, 0 :: v_dual_mov_b32 v3, 0
	s_delay_alu instid0(VALU_DEP_3) | instskip(SKIP_4) | instid1(VALU_DEP_2)
	v_lshlrev_b64 v[0:1], 2, v[4:5]
	v_lshlrev_b64 v[5:6], 3, v[4:5]
	s_mov_b32 s3, 0
	s_mov_b32 s2, exec_lo
	s_waitcnt lgkmcnt(0)
	v_add_co_u32 v0, vcc_lo, s6, v0
	v_add_co_ci_u32_e32 v1, vcc_lo, s7, v1, vcc_lo
	global_load_b32 v10, v[0:1], off
	v_dual_mov_b32 v1, 0 :: v_dual_mov_b32 v0, 0
	s_waitcnt vmcnt(0)
	v_cmpx_lt_i32_e32 0, v10
	s_cbranch_execz .LBB2_19
; %bb.2:
	v_add_co_u32 v0, vcc_lo, s8, v5
	v_add_co_ci_u32_e32 v1, vcc_lo, s9, v6, vcc_lo
	v_dual_mov_b32 v7, 0 :: v_dual_mov_b32 v14, 4
	v_dual_mov_b32 v17, 4 :: v_dual_mov_b32 v2, 0
	global_load_b32 v8, v[0:1], off
	v_dual_mov_b32 v3, 0 :: v_dual_mov_b32 v0, 0
	v_mov_b32_e32 v1, 0
	s_waitcnt vmcnt(0)
	v_ashrrev_i32_e32 v9, 31, v8
	v_add_nc_u32_e32 v15, v10, v8
	v_add_co_u32 v10, vcc_lo, s4, v8
	s_delay_alu instid0(VALU_DEP_3) | instskip(SKIP_2) | instid1(VALU_DEP_3)
	v_lshlrev_b64 v[12:13], 1, v[8:9]
	v_add_co_ci_u32_e32 v11, vcc_lo, s5, v9, vcc_lo
	v_mov_b32_e32 v9, 4
	v_add_co_u32 v12, vcc_lo, s10, v12
	s_delay_alu instid0(VALU_DEP_4)
	v_add_co_ci_u32_e32 v13, vcc_lo, s11, v13, vcc_lo
	s_branch .LBB2_5
.LBB2_3:                                ;   in Loop: Header=BB2_5 Depth=1
	s_or_b32 exec_lo, exec_lo, s5
.LBB2_4:                                ;   in Loop: Header=BB2_5 Depth=1
	s_delay_alu instid0(SALU_CYCLE_1)
	s_or_b32 exec_lo, exec_lo, s4
	v_lshlrev_b16 v18, 6, v17
	v_lshlrev_b16 v19, 4, v9
	v_bfe_i32 v20, v9, 0, 8
	v_bfe_i32 v21, v14, 0, 8
	;; [unrolled: 1-line block ×3, first 2 shown]
	v_and_b32_e32 v18, 0xc0, v18
	v_and_b32_e32 v19, 48, v19
	v_max_i16 v20, v20, 3
	v_lshlrev_b16 v22, 2, v14
	v_max_i16 v21, v21, 3
	v_bfe_i32 v23, v16, 0, 8
	v_max_i16 v17, v17, 3
	v_or_b32_e32 v18, v18, v19
	v_and_b32_e32 v19, 12, v22
	v_add_nc_u16 v20, v20, v21
	v_max_i16 v21, v23, 3
	v_and_b32_e32 v17, 0xffff, v17
	v_add_nc_u32_e32 v8, 1, v8
	v_or_b32_e32 v18, v18, v19
	v_and_b32_e32 v19, 0xffff, v20
	v_and_b32_e32 v20, 0xffff, v21
	;; [unrolled: 1-line block ×3, first 2 shown]
	s_delay_alu instid0(VALU_DEP_3) | instskip(NEXT) | instid1(VALU_DEP_3)
	v_add3_u32 v17, v17, v19, -12
	v_sub_nc_u32_e32 v19, 0, v20
	s_delay_alu instid0(VALU_DEP_3) | instskip(NEXT) | instid1(VALU_DEP_2)
	v_or_b32_e32 v18, v18, v21
	v_cmp_eq_u32_e32 vcc_lo, v17, v19
	s_delay_alu instid0(VALU_DEP_2)
	v_cndmask_b32_e32 v17, -1, v18, vcc_lo
	v_add_co_ci_u32_e32 v7, vcc_lo, 0, v7, vcc_lo
	v_add_co_u32 v10, vcc_lo, v10, 1
	v_add_co_ci_u32_e32 v11, vcc_lo, 0, v11, vcc_lo
	global_store_b16 v[12:13], v17, off
	v_add_co_u32 v12, vcc_lo, v12, 2
	v_add_co_ci_u32_e32 v13, vcc_lo, 0, v13, vcc_lo
	v_mov_b32_e32 v17, v9
	v_mov_b32_e32 v9, v14
	v_cmp_ge_i32_e32 vcc_lo, v8, v15
	v_mov_b32_e32 v14, v16
	s_or_b32 s3, vcc_lo, s3
	s_delay_alu instid0(SALU_CYCLE_1)
	s_and_not1_b32 exec_lo, exec_lo, s3
	s_cbranch_execz .LBB2_18
.LBB2_5:                                ; =>This Inner Loop Header: Depth=1
	global_load_u8 v16, v[10:11], off
	s_mov_b32 s4, exec_lo
	s_waitcnt vmcnt(0)
	v_cmpx_lt_i16_e32 1, v16
	s_xor_b32 s4, exec_lo, s4
	s_cbranch_execz .LBB2_13
; %bb.6:                                ;   in Loop: Header=BB2_5 Depth=1
	s_mov_b32 s5, exec_lo
	v_cmpx_lt_i16_e32 2, v16
	s_xor_b32 s5, exec_lo, s5
	s_cbranch_execz .LBB2_10
; %bb.7:                                ;   in Loop: Header=BB2_5 Depth=1
	s_mov_b32 s6, exec_lo
	v_cmpx_eq_u16_e32 3, v16
; %bb.8:                                ;   in Loop: Header=BB2_5 Depth=1
	v_add_nc_u32_e32 v3, 1, v3
; %bb.9:                                ;   in Loop: Header=BB2_5 Depth=1
	s_or_b32 exec_lo, exec_lo, s6
.LBB2_10:                               ;   in Loop: Header=BB2_5 Depth=1
	s_and_not1_saveexec_b32 s5, s5
; %bb.11:                               ;   in Loop: Header=BB2_5 Depth=1
	v_add_nc_u32_e32 v2, 1, v2
; %bb.12:                               ;   in Loop: Header=BB2_5 Depth=1
	s_or_b32 exec_lo, exec_lo, s5
.LBB2_13:                               ;   in Loop: Header=BB2_5 Depth=1
	s_and_not1_saveexec_b32 s4, s4
	s_cbranch_execz .LBB2_4
; %bb.14:                               ;   in Loop: Header=BB2_5 Depth=1
	s_mov_b32 s5, exec_lo
	v_cmpx_lt_i16_e32 0, v16
	s_xor_b32 s5, exec_lo, s5
; %bb.15:                               ;   in Loop: Header=BB2_5 Depth=1
	v_add_nc_u32_e32 v1, 1, v1
; %bb.16:                               ;   in Loop: Header=BB2_5 Depth=1
	s_and_not1_saveexec_b32 s5, s5
	s_cbranch_execz .LBB2_3
; %bb.17:                               ;   in Loop: Header=BB2_5 Depth=1
	v_add_nc_u32_e32 v0, 1, v0
	s_branch .LBB2_3
.LBB2_18:
	s_or_b32 exec_lo, exec_lo, s3
	v_mov_b32_e32 v8, 0
.LBB2_19:
	s_or_b32 exec_lo, exec_lo, s2
	s_load_b128 s[0:3], s[0:1], 0x28
	v_lshlrev_b32_e32 v9, 2, v4
	s_delay_alu instid0(VALU_DEP_1) | instskip(NEXT) | instid1(VALU_DEP_1)
	v_ashrrev_i32_e32 v10, 31, v9
	v_lshlrev_b64 v[9:10], 2, v[9:10]
	s_waitcnt lgkmcnt(0)
	v_add_co_u32 v4, vcc_lo, s0, v5
	v_add_co_ci_u32_e32 v5, vcc_lo, s1, v6, vcc_lo
	s_delay_alu instid0(VALU_DEP_3) | instskip(NEXT) | instid1(VALU_DEP_4)
	v_add_co_u32 v9, vcc_lo, s2, v9
	v_add_co_ci_u32_e32 v10, vcc_lo, s3, v10, vcc_lo
	global_store_b64 v[4:5], v[7:8], off
	global_store_b128 v[9:10], v[0:3], off
.LBB2_20:
	s_nop 0
	s_sendmsg sendmsg(MSG_DEALLOC_VGPRS)
	s_endpgm
	.section	.rodata,"a",@progbits
	.p2align	6, 0x0
	.amdhsa_kernel _Z19kernel_createIndex4PKcPKiPKlPtS5_PlPii
		.amdhsa_group_segment_fixed_size 0
		.amdhsa_private_segment_fixed_size 0
		.amdhsa_kernarg_size 320
		.amdhsa_user_sgpr_count 15
		.amdhsa_user_sgpr_dispatch_ptr 0
		.amdhsa_user_sgpr_queue_ptr 0
		.amdhsa_user_sgpr_kernarg_segment_ptr 1
		.amdhsa_user_sgpr_dispatch_id 0
		.amdhsa_user_sgpr_private_segment_size 0
		.amdhsa_wavefront_size32 1
		.amdhsa_uses_dynamic_stack 0
		.amdhsa_enable_private_segment 0
		.amdhsa_system_sgpr_workgroup_id_x 1
		.amdhsa_system_sgpr_workgroup_id_y 0
		.amdhsa_system_sgpr_workgroup_id_z 0
		.amdhsa_system_sgpr_workgroup_info 0
		.amdhsa_system_vgpr_workitem_id 0
		.amdhsa_next_free_vgpr 24
		.amdhsa_next_free_sgpr 16
		.amdhsa_reserve_vcc 1
		.amdhsa_float_round_mode_32 0
		.amdhsa_float_round_mode_16_64 0
		.amdhsa_float_denorm_mode_32 3
		.amdhsa_float_denorm_mode_16_64 3
		.amdhsa_dx10_clamp 1
		.amdhsa_ieee_mode 1
		.amdhsa_fp16_overflow 0
		.amdhsa_workgroup_processor_mode 1
		.amdhsa_memory_ordered 1
		.amdhsa_forward_progress 0
		.amdhsa_shared_vgpr_count 0
		.amdhsa_exception_fp_ieee_invalid_op 0
		.amdhsa_exception_fp_denorm_src 0
		.amdhsa_exception_fp_ieee_div_zero 0
		.amdhsa_exception_fp_ieee_overflow 0
		.amdhsa_exception_fp_ieee_underflow 0
		.amdhsa_exception_fp_ieee_inexact 0
		.amdhsa_exception_int_div_zero 0
	.end_amdhsa_kernel
	.text
.Lfunc_end2:
	.size	_Z19kernel_createIndex4PKcPKiPKlPtS5_PlPii, .Lfunc_end2-_Z19kernel_createIndex4PKcPKiPKlPtS5_PlPii
                                        ; -- End function
	.section	.AMDGPU.csdata,"",@progbits
; Kernel info:
; codeLenInByte = 748
; NumSgprs: 18
; NumVgprs: 24
; ScratchSize: 0
; MemoryBound: 0
; FloatMode: 240
; IeeeMode: 1
; LDSByteSize: 0 bytes/workgroup (compile time only)
; SGPRBlocks: 2
; VGPRBlocks: 2
; NumSGPRsForWavesPerEU: 18
; NumVGPRsForWavesPerEU: 24
; Occupancy: 16
; WaveLimiterHint : 0
; COMPUTE_PGM_RSRC2:SCRATCH_EN: 0
; COMPUTE_PGM_RSRC2:USER_SGPR: 15
; COMPUTE_PGM_RSRC2:TRAP_HANDLER: 0
; COMPUTE_PGM_RSRC2:TGID_X_EN: 1
; COMPUTE_PGM_RSRC2:TGID_Y_EN: 0
; COMPUTE_PGM_RSRC2:TGID_Z_EN: 0
; COMPUTE_PGM_RSRC2:TIDIG_COMP_CNT: 0
	.text
	.protected	_Z19kernel_createIndex5PKcPKiPKlPtS5_PlPii ; -- Begin function _Z19kernel_createIndex5PKcPKiPKlPtS5_PlPii
	.globl	_Z19kernel_createIndex5PKcPKiPKlPtS5_PlPii
	.p2align	8
	.type	_Z19kernel_createIndex5PKcPKiPKlPtS5_PlPii,@function
_Z19kernel_createIndex5PKcPKiPKlPtS5_PlPii: ; @_Z19kernel_createIndex5PKcPKiPKlPtS5_PlPii
; %bb.0:
	s_clause 0x1
	s_load_b32 s2, s[0:1], 0x4c
	s_load_b32 s3, s[0:1], 0x38
	s_waitcnt lgkmcnt(0)
	s_and_b32 s2, s2, 0xffff
	s_delay_alu instid0(SALU_CYCLE_1) | instskip(SKIP_1) | instid1(VALU_DEP_1)
	v_mad_u64_u32 v[4:5], null, s15, s2, v[0:1]
	s_mov_b32 s2, exec_lo
	v_cmpx_gt_i32_e64 s3, v4
	s_cbranch_execz .LBB3_20
; %bb.1:
	s_load_b256 s[4:11], s[0:1], 0x0
	v_ashrrev_i32_e32 v5, 31, v4
	v_dual_mov_b32 v7, 0 :: v_dual_mov_b32 v2, 0
	v_dual_mov_b32 v8, 0 :: v_dual_mov_b32 v3, 0
	s_delay_alu instid0(VALU_DEP_3) | instskip(SKIP_3) | instid1(VALU_DEP_2)
	v_lshlrev_b64 v[0:1], 2, v[4:5]
	v_lshlrev_b64 v[5:6], 3, v[4:5]
	s_mov_b32 s3, exec_lo
	s_waitcnt lgkmcnt(0)
	v_add_co_u32 v0, vcc_lo, s6, v0
	s_delay_alu instid0(VALU_DEP_3)
	v_add_co_ci_u32_e32 v1, vcc_lo, s7, v1, vcc_lo
	s_mov_b32 s6, 0
	global_load_b32 v10, v[0:1], off
	v_dual_mov_b32 v1, 0 :: v_dual_mov_b32 v0, 0
	s_waitcnt vmcnt(0)
	v_cmpx_lt_i32_e32 0, v10
	s_cbranch_execz .LBB3_19
; %bb.2:
	v_add_co_u32 v0, vcc_lo, s8, v5
	v_add_co_ci_u32_e32 v1, vcc_lo, s9, v6, vcc_lo
	v_dual_mov_b32 v7, 0 :: v_dual_mov_b32 v2, 0
	v_mov_b32_e32 v17, 4
	global_load_b32 v8, v[0:1], off
	v_dual_mov_b32 v0, 0 :: v_dual_mov_b32 v3, 0
	v_dual_mov_b32 v15, 4 :: v_dual_mov_b32 v16, 4
	;; [unrolled: 1-line block ×3, first 2 shown]
	s_waitcnt vmcnt(0)
	v_ashrrev_i32_e32 v9, 31, v8
	v_add_nc_u32_e32 v14, v10, v8
	v_add_co_u32 v10, vcc_lo, s4, v8
	s_delay_alu instid0(VALU_DEP_3) | instskip(SKIP_1) | instid1(VALU_DEP_2)
	v_lshlrev_b64 v[12:13], 1, v[8:9]
	v_add_co_ci_u32_e32 v11, vcc_lo, s5, v9, vcc_lo
	v_add_co_u32 v12, vcc_lo, s10, v12
	s_delay_alu instid0(VALU_DEP_3)
	v_add_co_ci_u32_e32 v13, vcc_lo, s11, v13, vcc_lo
	s_branch .LBB3_5
.LBB3_3:                                ;   in Loop: Header=BB3_5 Depth=1
	s_or_b32 exec_lo, exec_lo, s4
.LBB3_4:                                ;   in Loop: Header=BB3_5 Depth=1
	s_delay_alu instid0(SALU_CYCLE_1)
	s_or_b32 exec_lo, exec_lo, s2
	v_and_b32_e32 v19, 0xff, v16
	v_lshlrev_b16 v20, 8, v18
	v_lshlrev_b16 v17, 8, v17
	v_bfe_i32 v21, v9, 0, 8
	v_and_b32_e32 v18, 0xff, v18
	v_lshlrev_b16 v24, 2, v9
	v_or_b32_e32 v19, v19, v20
	v_lshlrev_b16 v20, 8, v16
	v_and_b32_e32 v17, 0xffff, v17
	v_lshlrev_b16 v16, 6, v16
	v_lshlrev_b16 v9, 8, v9
	v_lshlrev_b32_e32 v23, 16, v19
	v_bfe_i32 v19, v19, 0, 8
	v_bfe_i32 v22, v15, 0, 8
	v_and_b32_e32 v26, 0xc0, v16
	v_max_i16 v21, v21, 3
	v_or_b32_e32 v17, v17, v23
	v_lshrrev_b32_e32 v16, 24, v23
	v_max_i16 v19, v19, 3
	v_max_i16 v22, v22, 3
	v_and_b32_e32 v24, 12, v24
	v_lshrrev_b32_e32 v17, 8, v17
	v_bfe_i32 v23, v16, 0, 8
	v_lshlrev_b16 v28, 4, v16
	v_or_b32_e32 v16, v18, v9
	v_and_b32_e32 v21, 0xffff, v21
	v_lshlrev_b16 v27, 8, v17
	v_bfe_i32 v17, v17, 0, 8
	v_max_i16 v23, v23, 3
	v_and_b32_e32 v9, 48, v28
	v_lshrrev_b32_e32 v20, 8, v20
	v_and_b32_e32 v27, 0x300, v27
	v_max_i16 v17, v17, 3
	v_add_nc_u16 v18, v19, v23
	v_and_b32_e32 v25, 3, v15
	v_lshlrev_b16 v20, 8, v20
	v_or_b32_e32 v19, v27, v26
	v_and_b32_e32 v17, 0xffff, v17
	v_and_b32_e32 v18, 0xffff, v18
	v_add_co_u32 v10, vcc_lo, v10, 1
	s_delay_alu instid0(VALU_DEP_4) | instskip(SKIP_1) | instid1(VALU_DEP_4)
	v_or_b32_e32 v9, v19, v9
	v_and_b32_e32 v19, 0xffff, v22
	v_add_nc_u32_e32 v17, v17, v18
	v_add_co_ci_u32_e32 v11, vcc_lo, 0, v11, vcc_lo
	s_delay_alu instid0(VALU_DEP_4) | instskip(NEXT) | instid1(VALU_DEP_4)
	v_or_b32_e32 v9, v9, v24
	v_sub_nc_u32_e32 v18, 0, v19
	s_delay_alu instid0(VALU_DEP_4)
	v_add3_u32 v17, v17, v21, -15
	v_lshlrev_b32_e32 v22, 16, v16
	v_and_b32_e32 v20, 0xffff, v20
	v_or_b32_e32 v9, v9, v25
	v_add_nc_u32_e32 v8, 1, v8
	v_cmp_eq_u32_e32 vcc_lo, v17, v18
	v_lshrrev_b32_e32 v18, 24, v22
	v_or_b32_e32 v19, v20, v22
	v_cndmask_b32_e32 v9, -1, v9, vcc_lo
	v_add_co_ci_u32_e32 v7, vcc_lo, 0, v7, vcc_lo
	v_cmp_ge_i32_e32 vcc_lo, v8, v14
	s_delay_alu instid0(VALU_DEP_4) | instskip(SKIP_2) | instid1(VALU_DEP_1)
	v_lshrrev_b32_e32 v17, 8, v19
	global_store_b16 v[12:13], v9, off
	v_add_co_u32 v12, s2, v12, 2
	v_add_co_ci_u32_e64 v13, s2, 0, v13, s2
	s_or_b32 s6, vcc_lo, s6
	s_delay_alu instid0(SALU_CYCLE_1)
	s_and_not1_b32 exec_lo, exec_lo, s6
	s_cbranch_execz .LBB3_18
.LBB3_5:                                ; =>This Inner Loop Header: Depth=1
	v_mov_b32_e32 v9, v15
	global_load_u8 v15, v[10:11], off
	s_mov_b32 s2, exec_lo
	s_waitcnt vmcnt(0)
	v_cmpx_lt_i16_e32 1, v15
	s_xor_b32 s2, exec_lo, s2
	s_cbranch_execz .LBB3_13
; %bb.6:                                ;   in Loop: Header=BB3_5 Depth=1
	s_mov_b32 s4, exec_lo
	v_cmpx_lt_i16_e32 2, v15
	s_xor_b32 s4, exec_lo, s4
	s_cbranch_execz .LBB3_10
; %bb.7:                                ;   in Loop: Header=BB3_5 Depth=1
	s_mov_b32 s5, exec_lo
	v_cmpx_eq_u16_e32 3, v15
; %bb.8:                                ;   in Loop: Header=BB3_5 Depth=1
	v_add_nc_u32_e32 v3, 1, v3
; %bb.9:                                ;   in Loop: Header=BB3_5 Depth=1
	s_or_b32 exec_lo, exec_lo, s5
.LBB3_10:                               ;   in Loop: Header=BB3_5 Depth=1
	s_and_not1_saveexec_b32 s4, s4
; %bb.11:                               ;   in Loop: Header=BB3_5 Depth=1
	v_add_nc_u32_e32 v2, 1, v2
; %bb.12:                               ;   in Loop: Header=BB3_5 Depth=1
	s_or_b32 exec_lo, exec_lo, s4
.LBB3_13:                               ;   in Loop: Header=BB3_5 Depth=1
	s_and_not1_saveexec_b32 s2, s2
	s_cbranch_execz .LBB3_4
; %bb.14:                               ;   in Loop: Header=BB3_5 Depth=1
	s_mov_b32 s4, exec_lo
	v_cmpx_lt_i16_e32 0, v15
	s_xor_b32 s4, exec_lo, s4
; %bb.15:                               ;   in Loop: Header=BB3_5 Depth=1
	v_add_nc_u32_e32 v1, 1, v1
; %bb.16:                               ;   in Loop: Header=BB3_5 Depth=1
	s_and_not1_saveexec_b32 s4, s4
	s_cbranch_execz .LBB3_3
; %bb.17:                               ;   in Loop: Header=BB3_5 Depth=1
	v_add_nc_u32_e32 v0, 1, v0
	s_branch .LBB3_3
.LBB3_18:
	s_or_b32 exec_lo, exec_lo, s6
	v_mov_b32_e32 v8, 0
.LBB3_19:
	s_or_b32 exec_lo, exec_lo, s3
	s_load_b128 s[0:3], s[0:1], 0x28
	v_lshlrev_b32_e32 v9, 2, v4
	s_delay_alu instid0(VALU_DEP_1) | instskip(NEXT) | instid1(VALU_DEP_1)
	v_ashrrev_i32_e32 v10, 31, v9
	v_lshlrev_b64 v[9:10], 2, v[9:10]
	s_waitcnt lgkmcnt(0)
	v_add_co_u32 v4, vcc_lo, s0, v5
	v_add_co_ci_u32_e32 v5, vcc_lo, s1, v6, vcc_lo
	s_delay_alu instid0(VALU_DEP_3) | instskip(NEXT) | instid1(VALU_DEP_4)
	v_add_co_u32 v9, vcc_lo, s2, v9
	v_add_co_ci_u32_e32 v10, vcc_lo, s3, v10, vcc_lo
	global_store_b64 v[4:5], v[7:8], off
	global_store_b128 v[9:10], v[0:3], off
.LBB3_20:
	s_nop 0
	s_sendmsg sendmsg(MSG_DEALLOC_VGPRS)
	s_endpgm
	.section	.rodata,"a",@progbits
	.p2align	6, 0x0
	.amdhsa_kernel _Z19kernel_createIndex5PKcPKiPKlPtS5_PlPii
		.amdhsa_group_segment_fixed_size 0
		.amdhsa_private_segment_fixed_size 0
		.amdhsa_kernarg_size 320
		.amdhsa_user_sgpr_count 15
		.amdhsa_user_sgpr_dispatch_ptr 0
		.amdhsa_user_sgpr_queue_ptr 0
		.amdhsa_user_sgpr_kernarg_segment_ptr 1
		.amdhsa_user_sgpr_dispatch_id 0
		.amdhsa_user_sgpr_private_segment_size 0
		.amdhsa_wavefront_size32 1
		.amdhsa_uses_dynamic_stack 0
		.amdhsa_enable_private_segment 0
		.amdhsa_system_sgpr_workgroup_id_x 1
		.amdhsa_system_sgpr_workgroup_id_y 0
		.amdhsa_system_sgpr_workgroup_id_z 0
		.amdhsa_system_sgpr_workgroup_info 0
		.amdhsa_system_vgpr_workitem_id 0
		.amdhsa_next_free_vgpr 29
		.amdhsa_next_free_sgpr 16
		.amdhsa_reserve_vcc 1
		.amdhsa_float_round_mode_32 0
		.amdhsa_float_round_mode_16_64 0
		.amdhsa_float_denorm_mode_32 3
		.amdhsa_float_denorm_mode_16_64 3
		.amdhsa_dx10_clamp 1
		.amdhsa_ieee_mode 1
		.amdhsa_fp16_overflow 0
		.amdhsa_workgroup_processor_mode 1
		.amdhsa_memory_ordered 1
		.amdhsa_forward_progress 0
		.amdhsa_shared_vgpr_count 0
		.amdhsa_exception_fp_ieee_invalid_op 0
		.amdhsa_exception_fp_denorm_src 0
		.amdhsa_exception_fp_ieee_div_zero 0
		.amdhsa_exception_fp_ieee_overflow 0
		.amdhsa_exception_fp_ieee_underflow 0
		.amdhsa_exception_fp_ieee_inexact 0
		.amdhsa_exception_int_div_zero 0
	.end_amdhsa_kernel
	.text
.Lfunc_end3:
	.size	_Z19kernel_createIndex5PKcPKiPKlPtS5_PlPii, .Lfunc_end3-_Z19kernel_createIndex5PKcPKiPKlPtS5_PlPii
                                        ; -- End function
	.section	.AMDGPU.csdata,"",@progbits
; Kernel info:
; codeLenInByte = 920
; NumSgprs: 18
; NumVgprs: 29
; ScratchSize: 0
; MemoryBound: 0
; FloatMode: 240
; IeeeMode: 1
; LDSByteSize: 0 bytes/workgroup (compile time only)
; SGPRBlocks: 2
; VGPRBlocks: 3
; NumSGPRsForWavesPerEU: 18
; NumVGPRsForWavesPerEU: 29
; Occupancy: 16
; WaveLimiterHint : 0
; COMPUTE_PGM_RSRC2:SCRATCH_EN: 0
; COMPUTE_PGM_RSRC2:USER_SGPR: 15
; COMPUTE_PGM_RSRC2:TRAP_HANDLER: 0
; COMPUTE_PGM_RSRC2:TGID_X_EN: 1
; COMPUTE_PGM_RSRC2:TGID_Y_EN: 0
; COMPUTE_PGM_RSRC2:TGID_Z_EN: 0
; COMPUTE_PGM_RSRC2:TIDIG_COMP_CNT: 0
	.text
	.protected	_Z19kernel_createIndex6PKcPKiPKlPtS5_PlPii ; -- Begin function _Z19kernel_createIndex6PKcPKiPKlPtS5_PlPii
	.globl	_Z19kernel_createIndex6PKcPKiPKlPtS5_PlPii
	.p2align	8
	.type	_Z19kernel_createIndex6PKcPKiPKlPtS5_PlPii,@function
_Z19kernel_createIndex6PKcPKiPKlPtS5_PlPii: ; @_Z19kernel_createIndex6PKcPKiPKlPtS5_PlPii
; %bb.0:
	s_clause 0x1
	s_load_b32 s2, s[0:1], 0x4c
	s_load_b32 s3, s[0:1], 0x38
	s_waitcnt lgkmcnt(0)
	s_and_b32 s2, s2, 0xffff
	s_delay_alu instid0(SALU_CYCLE_1) | instskip(SKIP_1) | instid1(VALU_DEP_1)
	v_mad_u64_u32 v[4:5], null, s15, s2, v[0:1]
	s_mov_b32 s2, exec_lo
	v_cmpx_gt_i32_e64 s3, v4
	s_cbranch_execz .LBB4_20
; %bb.1:
	s_load_b256 s[4:11], s[0:1], 0x0
	v_ashrrev_i32_e32 v5, 31, v4
	v_dual_mov_b32 v7, 0 :: v_dual_mov_b32 v2, 0
	v_dual_mov_b32 v8, 0 :: v_dual_mov_b32 v3, 0
	s_delay_alu instid0(VALU_DEP_3) | instskip(SKIP_3) | instid1(VALU_DEP_2)
	v_lshlrev_b64 v[0:1], 2, v[4:5]
	v_lshlrev_b64 v[5:6], 3, v[4:5]
	s_mov_b32 s3, exec_lo
	s_waitcnt lgkmcnt(0)
	v_add_co_u32 v0, vcc_lo, s6, v0
	s_delay_alu instid0(VALU_DEP_3)
	v_add_co_ci_u32_e32 v1, vcc_lo, s7, v1, vcc_lo
	s_mov_b32 s6, 0
	global_load_b32 v10, v[0:1], off
	v_dual_mov_b32 v1, 0 :: v_dual_mov_b32 v0, 0
	s_waitcnt vmcnt(0)
	v_cmpx_lt_i32_e32 0, v10
	s_cbranch_execz .LBB4_19
; %bb.2:
	v_add_co_u32 v0, vcc_lo, s8, v5
	v_add_co_ci_u32_e32 v1, vcc_lo, s9, v6, vcc_lo
	v_dual_mov_b32 v7, 0 :: v_dual_mov_b32 v18, 4
	v_dual_mov_b32 v19, 4 :: v_dual_mov_b32 v2, 0
	global_load_b32 v8, v[0:1], off
	v_mov_b32_e32 v3, 0
	v_dual_mov_b32 v15, 4 :: v_dual_mov_b32 v0, 0
	v_dual_mov_b32 v1, 0 :: v_dual_mov_b32 v16, 4
	v_mov_b32_e32 v17, 4
	s_waitcnt vmcnt(0)
	v_ashrrev_i32_e32 v9, 31, v8
	v_add_nc_u32_e32 v14, v10, v8
	v_add_co_u32 v10, vcc_lo, s4, v8
	s_delay_alu instid0(VALU_DEP_3) | instskip(SKIP_1) | instid1(VALU_DEP_2)
	v_lshlrev_b64 v[12:13], 1, v[8:9]
	v_add_co_ci_u32_e32 v11, vcc_lo, s5, v9, vcc_lo
	v_add_co_u32 v12, vcc_lo, s10, v12
	s_delay_alu instid0(VALU_DEP_3)
	v_add_co_ci_u32_e32 v13, vcc_lo, s11, v13, vcc_lo
	s_branch .LBB4_5
.LBB4_3:                                ;   in Loop: Header=BB4_5 Depth=1
	s_or_b32 exec_lo, exec_lo, s4
.LBB4_4:                                ;   in Loop: Header=BB4_5 Depth=1
	s_delay_alu instid0(SALU_CYCLE_1)
	s_or_b32 exec_lo, exec_lo, s2
	v_and_b32_e32 v20, 0xff, v17
	v_lshlrev_b16 v21, 8, v16
	v_lshlrev_b16 v18, 8, v18
	;; [unrolled: 1-line block ×3, first 2 shown]
	v_bfe_i32 v23, v9, 0, 8
	v_lshlrev_b16 v17, 8, v17
	v_or_b32_e32 v20, v20, v21
	v_and_b32_e32 v18, 0xffff, v18
	v_bfe_i32 v21, v19, 0, 8
	v_bfe_i32 v25, v15, 0, 8
	v_and_b32_e32 v28, 0x300, v17
	v_lshlrev_b32_e32 v24, 16, v20
	v_bfe_i32 v20, v20, 0, 8
	v_max_i16 v21, v21, 3
	v_max_i16 v23, v23, 3
	v_lshrrev_b32_e32 v22, 8, v22
	v_or_b32_e32 v18, v18, v24
	v_lshrrev_b32_e32 v24, 24, v24
	v_max_i16 v20, v20, 3
	v_lshlrev_b16 v19, 4, v19
	v_and_b32_e32 v16, 0xff, v16
	v_lshrrev_b32_e32 v18, 8, v18
	v_lshlrev_b16 v30, 6, v24
	v_bfe_i32 v24, v24, 0, 8
	v_max_i16 v25, v25, 3
	v_lshrrev_b32_e32 v17, 8, v17
	v_lshlrev_b16 v29, 10, v18
	v_bfe_i32 v18, v18, 0, 8
	v_max_i16 v24, v24, 3
	v_and_b32_e32 v30, 0xc0, v30
	v_add_nc_u16 v21, v21, v23
	v_and_b32_e32 v29, 0xc00, v29
	v_max_i16 v18, v18, 3
	v_add_nc_u16 v20, v20, v24
	v_lshlrev_b16 v22, 8, v22
	v_lshlrev_b16 v26, 2, v9
	v_or_b32_e32 v28, v29, v28
	v_and_b32_e32 v18, 0xffff, v18
	v_and_b32_e32 v20, 0xffff, v20
	;; [unrolled: 1-line block ×4, first 2 shown]
	v_or_b32_e32 v24, v28, v30
	v_lshlrev_b16 v23, 8, v17
	v_or_b32_e32 v17, v16, v22
	v_and_b32_e32 v16, 0xffff, v21
	v_add_nc_u32_e32 v18, v18, v20
	v_and_b32_e32 v26, 12, v26
	v_or_b32_e32 v19, v24, v19
	v_sub_nc_u32_e32 v22, 0, v25
	v_and_b32_e32 v20, 0xffff, v23
	v_add3_u32 v16, v18, v16, 0xffffffee
	v_lshlrev_b32_e32 v21, 16, v17
	v_or_b32_e32 v19, v19, v26
	v_add_nc_u32_e32 v8, 1, v8
	s_delay_alu instid0(VALU_DEP_4) | instskip(SKIP_2) | instid1(VALU_DEP_2)
	v_cmp_eq_u32_e32 vcc_lo, v16, v22
	v_and_b32_e32 v27, 3, v15
	v_lshrrev_b32_e32 v16, 24, v21
	v_or_b32_e32 v18, v19, v27
	v_or_b32_e32 v19, v20, v21
	s_delay_alu instid0(VALU_DEP_2)
	v_cndmask_b32_e32 v20, -1, v18, vcc_lo
	v_add_co_ci_u32_e32 v7, vcc_lo, 0, v7, vcc_lo
	v_add_co_u32 v10, vcc_lo, v10, 1
	v_add_co_ci_u32_e32 v11, vcc_lo, 0, v11, vcc_lo
	global_store_b16 v[12:13], v20, off
	v_cmp_ge_i32_e32 vcc_lo, v8, v14
	v_add_co_u32 v12, s2, v12, 2
	v_lshrrev_b32_e32 v18, 8, v19
	v_add_co_ci_u32_e64 v13, s2, 0, v13, s2
	v_mov_b32_e32 v19, v9
	s_or_b32 s6, vcc_lo, s6
	s_delay_alu instid0(SALU_CYCLE_1)
	s_and_not1_b32 exec_lo, exec_lo, s6
	s_cbranch_execz .LBB4_18
.LBB4_5:                                ; =>This Inner Loop Header: Depth=1
	v_mov_b32_e32 v9, v15
	global_load_u8 v15, v[10:11], off
	s_mov_b32 s2, exec_lo
	s_waitcnt vmcnt(0)
	v_cmpx_lt_i16_e32 1, v15
	s_xor_b32 s2, exec_lo, s2
	s_cbranch_execz .LBB4_13
; %bb.6:                                ;   in Loop: Header=BB4_5 Depth=1
	s_mov_b32 s4, exec_lo
	v_cmpx_lt_i16_e32 2, v15
	s_xor_b32 s4, exec_lo, s4
	s_cbranch_execz .LBB4_10
; %bb.7:                                ;   in Loop: Header=BB4_5 Depth=1
	s_mov_b32 s5, exec_lo
	v_cmpx_eq_u16_e32 3, v15
; %bb.8:                                ;   in Loop: Header=BB4_5 Depth=1
	v_add_nc_u32_e32 v3, 1, v3
; %bb.9:                                ;   in Loop: Header=BB4_5 Depth=1
	s_or_b32 exec_lo, exec_lo, s5
.LBB4_10:                               ;   in Loop: Header=BB4_5 Depth=1
	s_and_not1_saveexec_b32 s4, s4
; %bb.11:                               ;   in Loop: Header=BB4_5 Depth=1
	v_add_nc_u32_e32 v2, 1, v2
; %bb.12:                               ;   in Loop: Header=BB4_5 Depth=1
	s_or_b32 exec_lo, exec_lo, s4
.LBB4_13:                               ;   in Loop: Header=BB4_5 Depth=1
	s_and_not1_saveexec_b32 s2, s2
	s_cbranch_execz .LBB4_4
; %bb.14:                               ;   in Loop: Header=BB4_5 Depth=1
	s_mov_b32 s4, exec_lo
	v_cmpx_lt_i16_e32 0, v15
	s_xor_b32 s4, exec_lo, s4
; %bb.15:                               ;   in Loop: Header=BB4_5 Depth=1
	v_add_nc_u32_e32 v1, 1, v1
; %bb.16:                               ;   in Loop: Header=BB4_5 Depth=1
	s_and_not1_saveexec_b32 s4, s4
	s_cbranch_execz .LBB4_3
; %bb.17:                               ;   in Loop: Header=BB4_5 Depth=1
	v_add_nc_u32_e32 v0, 1, v0
	s_branch .LBB4_3
.LBB4_18:
	s_or_b32 exec_lo, exec_lo, s6
	v_mov_b32_e32 v8, 0
.LBB4_19:
	s_or_b32 exec_lo, exec_lo, s3
	s_load_b128 s[0:3], s[0:1], 0x28
	v_lshlrev_b32_e32 v9, 2, v4
	s_delay_alu instid0(VALU_DEP_1) | instskip(NEXT) | instid1(VALU_DEP_1)
	v_ashrrev_i32_e32 v10, 31, v9
	v_lshlrev_b64 v[9:10], 2, v[9:10]
	s_waitcnt lgkmcnt(0)
	v_add_co_u32 v4, vcc_lo, s0, v5
	v_add_co_ci_u32_e32 v5, vcc_lo, s1, v6, vcc_lo
	s_delay_alu instid0(VALU_DEP_3) | instskip(NEXT) | instid1(VALU_DEP_4)
	v_add_co_u32 v9, vcc_lo, s2, v9
	v_add_co_ci_u32_e32 v10, vcc_lo, s3, v10, vcc_lo
	global_store_b64 v[4:5], v[7:8], off
	global_store_b128 v[9:10], v[0:3], off
.LBB4_20:
	s_nop 0
	s_sendmsg sendmsg(MSG_DEALLOC_VGPRS)
	s_endpgm
	.section	.rodata,"a",@progbits
	.p2align	6, 0x0
	.amdhsa_kernel _Z19kernel_createIndex6PKcPKiPKlPtS5_PlPii
		.amdhsa_group_segment_fixed_size 0
		.amdhsa_private_segment_fixed_size 0
		.amdhsa_kernarg_size 320
		.amdhsa_user_sgpr_count 15
		.amdhsa_user_sgpr_dispatch_ptr 0
		.amdhsa_user_sgpr_queue_ptr 0
		.amdhsa_user_sgpr_kernarg_segment_ptr 1
		.amdhsa_user_sgpr_dispatch_id 0
		.amdhsa_user_sgpr_private_segment_size 0
		.amdhsa_wavefront_size32 1
		.amdhsa_uses_dynamic_stack 0
		.amdhsa_enable_private_segment 0
		.amdhsa_system_sgpr_workgroup_id_x 1
		.amdhsa_system_sgpr_workgroup_id_y 0
		.amdhsa_system_sgpr_workgroup_id_z 0
		.amdhsa_system_sgpr_workgroup_info 0
		.amdhsa_system_vgpr_workitem_id 0
		.amdhsa_next_free_vgpr 31
		.amdhsa_next_free_sgpr 16
		.amdhsa_reserve_vcc 1
		.amdhsa_float_round_mode_32 0
		.amdhsa_float_round_mode_16_64 0
		.amdhsa_float_denorm_mode_32 3
		.amdhsa_float_denorm_mode_16_64 3
		.amdhsa_dx10_clamp 1
		.amdhsa_ieee_mode 1
		.amdhsa_fp16_overflow 0
		.amdhsa_workgroup_processor_mode 1
		.amdhsa_memory_ordered 1
		.amdhsa_forward_progress 0
		.amdhsa_shared_vgpr_count 0
		.amdhsa_exception_fp_ieee_invalid_op 0
		.amdhsa_exception_fp_denorm_src 0
		.amdhsa_exception_fp_ieee_div_zero 0
		.amdhsa_exception_fp_ieee_overflow 0
		.amdhsa_exception_fp_ieee_underflow 0
		.amdhsa_exception_fp_ieee_inexact 0
		.amdhsa_exception_int_div_zero 0
	.end_amdhsa_kernel
	.text
.Lfunc_end4:
	.size	_Z19kernel_createIndex6PKcPKiPKlPtS5_PlPii, .Lfunc_end4-_Z19kernel_createIndex6PKcPKiPKlPtS5_PlPii
                                        ; -- End function
	.section	.AMDGPU.csdata,"",@progbits
; Kernel info:
; codeLenInByte = 972
; NumSgprs: 18
; NumVgprs: 31
; ScratchSize: 0
; MemoryBound: 0
; FloatMode: 240
; IeeeMode: 1
; LDSByteSize: 0 bytes/workgroup (compile time only)
; SGPRBlocks: 2
; VGPRBlocks: 3
; NumSGPRsForWavesPerEU: 18
; NumVGPRsForWavesPerEU: 31
; Occupancy: 16
; WaveLimiterHint : 0
; COMPUTE_PGM_RSRC2:SCRATCH_EN: 0
; COMPUTE_PGM_RSRC2:USER_SGPR: 15
; COMPUTE_PGM_RSRC2:TRAP_HANDLER: 0
; COMPUTE_PGM_RSRC2:TGID_X_EN: 1
; COMPUTE_PGM_RSRC2:TGID_Y_EN: 0
; COMPUTE_PGM_RSRC2:TGID_Z_EN: 0
; COMPUTE_PGM_RSRC2:TIDIG_COMP_CNT: 0
	.text
	.protected	_Z19kernel_createIndex7PKcPKiPKlPtS5_PlPii ; -- Begin function _Z19kernel_createIndex7PKcPKiPKlPtS5_PlPii
	.globl	_Z19kernel_createIndex7PKcPKiPKlPtS5_PlPii
	.p2align	8
	.type	_Z19kernel_createIndex7PKcPKiPKlPtS5_PlPii,@function
_Z19kernel_createIndex7PKcPKiPKlPtS5_PlPii: ; @_Z19kernel_createIndex7PKcPKiPKlPtS5_PlPii
; %bb.0:
	s_clause 0x1
	s_load_b32 s2, s[0:1], 0x4c
	s_load_b32 s3, s[0:1], 0x38
	s_waitcnt lgkmcnt(0)
	s_and_b32 s2, s2, 0xffff
	s_delay_alu instid0(SALU_CYCLE_1) | instskip(SKIP_1) | instid1(VALU_DEP_1)
	v_mad_u64_u32 v[4:5], null, s15, s2, v[0:1]
	s_mov_b32 s2, exec_lo
	v_cmpx_gt_i32_e64 s3, v4
	s_cbranch_execz .LBB5_20
; %bb.1:
	s_load_b256 s[4:11], s[0:1], 0x0
	v_ashrrev_i32_e32 v5, 31, v4
	v_dual_mov_b32 v7, 0 :: v_dual_mov_b32 v2, 0
	v_dual_mov_b32 v8, 0 :: v_dual_mov_b32 v3, 0
	s_delay_alu instid0(VALU_DEP_3) | instskip(SKIP_3) | instid1(VALU_DEP_2)
	v_lshlrev_b64 v[0:1], 2, v[4:5]
	v_lshlrev_b64 v[5:6], 3, v[4:5]
	s_mov_b32 s3, exec_lo
	s_waitcnt lgkmcnt(0)
	v_add_co_u32 v0, vcc_lo, s6, v0
	s_delay_alu instid0(VALU_DEP_3)
	v_add_co_ci_u32_e32 v1, vcc_lo, s7, v1, vcc_lo
	s_mov_b32 s6, 0
	global_load_b32 v10, v[0:1], off
	v_dual_mov_b32 v1, 0 :: v_dual_mov_b32 v0, 0
	s_waitcnt vmcnt(0)
	v_cmpx_lt_i32_e32 0, v10
	s_cbranch_execz .LBB5_19
; %bb.2:
	v_add_co_u32 v0, vcc_lo, s8, v5
	v_add_co_ci_u32_e32 v1, vcc_lo, s9, v6, vcc_lo
	v_dual_mov_b32 v7, 0 :: v_dual_mov_b32 v20, 4
	v_dual_mov_b32 v19, 4 :: v_dual_mov_b32 v14, 4
	global_load_b32 v8, v[0:1], off
	v_mov_b32_e32 v0, 0
	v_dual_mov_b32 v16, 4 :: v_dual_mov_b32 v3, 0
	v_dual_mov_b32 v2, 0 :: v_dual_mov_b32 v1, 0
	;; [unrolled: 1-line block ×3, first 2 shown]
	s_waitcnt vmcnt(0)
	v_ashrrev_i32_e32 v9, 31, v8
	v_add_nc_u32_e32 v15, v10, v8
	v_add_co_u32 v10, vcc_lo, s4, v8
	s_delay_alu instid0(VALU_DEP_3) | instskip(SKIP_1) | instid1(VALU_DEP_2)
	v_lshlrev_b64 v[12:13], 1, v[8:9]
	v_add_co_ci_u32_e32 v11, vcc_lo, s5, v9, vcc_lo
	v_add_co_u32 v12, vcc_lo, s10, v12
	s_delay_alu instid0(VALU_DEP_3)
	v_add_co_ci_u32_e32 v13, vcc_lo, s11, v13, vcc_lo
	s_branch .LBB5_5
.LBB5_3:                                ;   in Loop: Header=BB5_5 Depth=1
	s_or_b32 exec_lo, exec_lo, s4
.LBB5_4:                                ;   in Loop: Header=BB5_5 Depth=1
	s_delay_alu instid0(SALU_CYCLE_1)
	s_or_b32 exec_lo, exec_lo, s2
	v_and_b32_e32 v21, 0xff, v18
	v_lshlrev_b16 v22, 8, v17
	v_lshlrev_b16 v20, 8, v20
	;; [unrolled: 1-line block ×4, first 2 shown]
	v_bfe_i32 v24, v19, 0, 8
	v_or_b32_e32 v21, v21, v22
	v_and_b32_e32 v20, 0xffff, v20
	v_bfe_i32 v22, v14, 0, 8
	v_and_b32_e32 v18, 0xc00, v18
	v_lshlrev_b16 v23, 8, v19
	v_lshlrev_b32_e32 v27, 16, v21
	v_bfe_i32 v21, v21, 0, 8
	v_bfe_i32 v25, v9, 0, 8
	v_lshlrev_b16 v19, 6, v19
	v_max_i16 v24, v24, 3
	v_or_b32_e32 v20, v20, v27
	v_lshrrev_b32_e32 v27, 24, v27
	v_max_i16 v22, v22, 3
	v_max_i16 v21, v21, 3
	v_bfe_i32 v28, v16, 0, 8
	v_lshrrev_b32_e32 v20, 8, v20
	v_lshlrev_b16 v33, 8, v27
	v_bfe_i32 v27, v27, 0, 8
	v_lshlrev_b16 v29, 4, v14
	v_and_b32_e32 v19, 0xc0, v19
	v_lshlrev_b16 v32, 12, v20
	v_and_b32_e32 v33, 0x300, v33
	v_bfe_i32 v20, v20, 0, 8
	v_max_i16 v27, v27, 3
	v_max_i16 v25, v25, 3
	v_and_b32_e32 v32, 0x3000, v32
	v_add_nc_u16 v22, v24, v22
	v_max_i16 v20, v20, 3
	v_add_nc_u16 v21, v21, v27
	v_lshlrev_b16 v30, 2, v9
	v_or_b32_e32 v18, v32, v18
	v_and_b32_e32 v29, 48, v29
	v_max_i16 v28, v28, 3
	v_lshrrev_b32_e32 v23, 8, v23
	v_and_b32_e32 v22, 0xffff, v22
	v_or_b32_e32 v18, v18, v33
	v_and_b32_e32 v20, 0xffff, v20
	v_and_b32_e32 v21, 0xffff, v21
	;; [unrolled: 1-line block ×4, first 2 shown]
	v_or_b32_e32 v18, v18, v19
	v_and_b32_e32 v19, 0xffff, v25
	v_and_b32_e32 v24, 0xffff, v28
	v_lshlrev_b16 v23, 8, v23
	v_add_nc_u32_e32 v20, v20, v21
	v_or_b32_e32 v18, v18, v29
	v_add_nc_u32_e32 v19, v22, v19
	v_lshrrev_b32_e32 v26, 8, v26
	v_and_b32_e32 v31, 3, v16
	v_add_nc_u32_e32 v8, 1, v8
	v_or_b32_e32 v21, v18, v30
	v_or_b32_e32 v18, v17, v23
	v_sub_nc_u32_e32 v17, 0, v24
	v_add3_u32 v19, v20, v19, 0xffffffeb
	v_lshlrev_b16 v22, 8, v26
	v_or_b32_e32 v20, v21, v31
	s_delay_alu instid0(VALU_DEP_3) | instskip(NEXT) | instid1(VALU_DEP_3)
	v_cmp_eq_u32_e32 vcc_lo, v19, v17
	v_and_b32_e32 v21, 0xffff, v22
	s_delay_alu instid0(VALU_DEP_3) | instskip(SKIP_1) | instid1(VALU_DEP_2)
	v_dual_cndmask_b32 v19, -1, v20 :: v_dual_lshlrev_b32 v22, 16, v18
	v_add_co_ci_u32_e32 v7, vcc_lo, 0, v7, vcc_lo
	v_or_b32_e32 v20, v21, v22
	v_add_co_u32 v10, vcc_lo, v10, 1
	v_add_co_ci_u32_e32 v11, vcc_lo, 0, v11, vcc_lo
	global_store_b16 v[12:13], v19, off
	v_cmp_ge_i32_e32 vcc_lo, v8, v15
	v_add_co_u32 v12, s2, v12, 2
	v_lshrrev_b32_e32 v17, 24, v22
	v_lshrrev_b32_e32 v20, 8, v20
	v_add_co_ci_u32_e64 v13, s2, 0, v13, s2
	v_dual_mov_b32 v19, v14 :: v_dual_mov_b32 v14, v9
	s_or_b32 s6, vcc_lo, s6
	s_delay_alu instid0(SALU_CYCLE_1)
	s_and_not1_b32 exec_lo, exec_lo, s6
	s_cbranch_execz .LBB5_18
.LBB5_5:                                ; =>This Inner Loop Header: Depth=1
	v_mov_b32_e32 v9, v16
	global_load_u8 v16, v[10:11], off
	s_mov_b32 s2, exec_lo
	s_waitcnt vmcnt(0)
	v_cmpx_lt_i16_e32 1, v16
	s_xor_b32 s2, exec_lo, s2
	s_cbranch_execz .LBB5_13
; %bb.6:                                ;   in Loop: Header=BB5_5 Depth=1
	s_mov_b32 s4, exec_lo
	v_cmpx_lt_i16_e32 2, v16
	s_xor_b32 s4, exec_lo, s4
	s_cbranch_execz .LBB5_10
; %bb.7:                                ;   in Loop: Header=BB5_5 Depth=1
	s_mov_b32 s5, exec_lo
	v_cmpx_eq_u16_e32 3, v16
; %bb.8:                                ;   in Loop: Header=BB5_5 Depth=1
	v_add_nc_u32_e32 v3, 1, v3
; %bb.9:                                ;   in Loop: Header=BB5_5 Depth=1
	s_or_b32 exec_lo, exec_lo, s5
.LBB5_10:                               ;   in Loop: Header=BB5_5 Depth=1
	s_and_not1_saveexec_b32 s4, s4
; %bb.11:                               ;   in Loop: Header=BB5_5 Depth=1
	v_add_nc_u32_e32 v2, 1, v2
; %bb.12:                               ;   in Loop: Header=BB5_5 Depth=1
	s_or_b32 exec_lo, exec_lo, s4
.LBB5_13:                               ;   in Loop: Header=BB5_5 Depth=1
	s_and_not1_saveexec_b32 s2, s2
	s_cbranch_execz .LBB5_4
; %bb.14:                               ;   in Loop: Header=BB5_5 Depth=1
	s_mov_b32 s4, exec_lo
	v_cmpx_lt_i16_e32 0, v16
	s_xor_b32 s4, exec_lo, s4
; %bb.15:                               ;   in Loop: Header=BB5_5 Depth=1
	v_add_nc_u32_e32 v1, 1, v1
; %bb.16:                               ;   in Loop: Header=BB5_5 Depth=1
	s_and_not1_saveexec_b32 s4, s4
	s_cbranch_execz .LBB5_3
; %bb.17:                               ;   in Loop: Header=BB5_5 Depth=1
	v_add_nc_u32_e32 v0, 1, v0
	s_branch .LBB5_3
.LBB5_18:
	s_or_b32 exec_lo, exec_lo, s6
	v_mov_b32_e32 v8, 0
.LBB5_19:
	s_or_b32 exec_lo, exec_lo, s3
	s_load_b128 s[0:3], s[0:1], 0x28
	v_lshlrev_b32_e32 v9, 2, v4
	s_delay_alu instid0(VALU_DEP_1) | instskip(NEXT) | instid1(VALU_DEP_1)
	v_ashrrev_i32_e32 v10, 31, v9
	v_lshlrev_b64 v[9:10], 2, v[9:10]
	s_waitcnt lgkmcnt(0)
	v_add_co_u32 v4, vcc_lo, s0, v5
	v_add_co_ci_u32_e32 v5, vcc_lo, s1, v6, vcc_lo
	s_delay_alu instid0(VALU_DEP_3) | instskip(NEXT) | instid1(VALU_DEP_4)
	v_add_co_u32 v9, vcc_lo, s2, v9
	v_add_co_ci_u32_e32 v10, vcc_lo, s3, v10, vcc_lo
	global_store_b64 v[4:5], v[7:8], off
	global_store_b128 v[9:10], v[0:3], off
.LBB5_20:
	s_nop 0
	s_sendmsg sendmsg(MSG_DEALLOC_VGPRS)
	s_endpgm
	.section	.rodata,"a",@progbits
	.p2align	6, 0x0
	.amdhsa_kernel _Z19kernel_createIndex7PKcPKiPKlPtS5_PlPii
		.amdhsa_group_segment_fixed_size 0
		.amdhsa_private_segment_fixed_size 0
		.amdhsa_kernarg_size 320
		.amdhsa_user_sgpr_count 15
		.amdhsa_user_sgpr_dispatch_ptr 0
		.amdhsa_user_sgpr_queue_ptr 0
		.amdhsa_user_sgpr_kernarg_segment_ptr 1
		.amdhsa_user_sgpr_dispatch_id 0
		.amdhsa_user_sgpr_private_segment_size 0
		.amdhsa_wavefront_size32 1
		.amdhsa_uses_dynamic_stack 0
		.amdhsa_enable_private_segment 0
		.amdhsa_system_sgpr_workgroup_id_x 1
		.amdhsa_system_sgpr_workgroup_id_y 0
		.amdhsa_system_sgpr_workgroup_id_z 0
		.amdhsa_system_sgpr_workgroup_info 0
		.amdhsa_system_vgpr_workitem_id 0
		.amdhsa_next_free_vgpr 34
		.amdhsa_next_free_sgpr 16
		.amdhsa_reserve_vcc 1
		.amdhsa_float_round_mode_32 0
		.amdhsa_float_round_mode_16_64 0
		.amdhsa_float_denorm_mode_32 3
		.amdhsa_float_denorm_mode_16_64 3
		.amdhsa_dx10_clamp 1
		.amdhsa_ieee_mode 1
		.amdhsa_fp16_overflow 0
		.amdhsa_workgroup_processor_mode 1
		.amdhsa_memory_ordered 1
		.amdhsa_forward_progress 0
		.amdhsa_shared_vgpr_count 0
		.amdhsa_exception_fp_ieee_invalid_op 0
		.amdhsa_exception_fp_denorm_src 0
		.amdhsa_exception_fp_ieee_div_zero 0
		.amdhsa_exception_fp_ieee_overflow 0
		.amdhsa_exception_fp_ieee_underflow 0
		.amdhsa_exception_fp_ieee_inexact 0
		.amdhsa_exception_int_div_zero 0
	.end_amdhsa_kernel
	.text
.Lfunc_end5:
	.size	_Z19kernel_createIndex7PKcPKiPKlPtS5_PlPii, .Lfunc_end5-_Z19kernel_createIndex7PKcPKiPKlPtS5_PlPii
                                        ; -- End function
	.section	.AMDGPU.csdata,"",@progbits
; Kernel info:
; codeLenInByte = 1036
; NumSgprs: 18
; NumVgprs: 34
; ScratchSize: 0
; MemoryBound: 0
; FloatMode: 240
; IeeeMode: 1
; LDSByteSize: 0 bytes/workgroup (compile time only)
; SGPRBlocks: 2
; VGPRBlocks: 4
; NumSGPRsForWavesPerEU: 18
; NumVGPRsForWavesPerEU: 34
; Occupancy: 16
; WaveLimiterHint : 0
; COMPUTE_PGM_RSRC2:SCRATCH_EN: 0
; COMPUTE_PGM_RSRC2:USER_SGPR: 15
; COMPUTE_PGM_RSRC2:TRAP_HANDLER: 0
; COMPUTE_PGM_RSRC2:TGID_X_EN: 1
; COMPUTE_PGM_RSRC2:TGID_Y_EN: 0
; COMPUTE_PGM_RSRC2:TGID_Z_EN: 0
; COMPUTE_PGM_RSRC2:TIDIG_COMP_CNT: 0
	.text
	.protected	_Z19kernel_createCutofffiPKiPlPii ; -- Begin function _Z19kernel_createCutofffiPKiPlPii
	.globl	_Z19kernel_createCutofffiPKiPlPii
	.p2align	8
	.type	_Z19kernel_createCutofffiPKiPlPii,@function
_Z19kernel_createCutofffiPKiPlPii:      ; @_Z19kernel_createCutofffiPKiPlPii
; %bb.0:
	s_clause 0x1
	s_load_b32 s2, s[0:1], 0x34
	s_load_b32 s3, s[0:1], 0x20
	s_waitcnt lgkmcnt(0)
	s_and_b32 s2, s2, 0xffff
	s_delay_alu instid0(SALU_CYCLE_1) | instskip(SKIP_1) | instid1(VALU_DEP_1)
	v_mad_u64_u32 v[1:2], null, s15, s2, v[0:1]
	s_mov_b32 s2, exec_lo
	v_cmpx_gt_i32_e64 s3, v1
	s_cbranch_execz .LBB6_2
; %bb.1:
	s_load_b128 s[4:7], s[0:1], 0x0
	v_ashrrev_i32_e32 v2, 31, v1
	s_load_b64 s[0:1], s[0:1], 0x18
	s_delay_alu instid0(VALU_DEP_1) | instskip(SKIP_1) | instid1(VALU_DEP_1)
	v_lshlrev_b64 v[0:1], 2, v[1:2]
	s_waitcnt lgkmcnt(0)
	v_add_co_u32 v2, vcc_lo, s6, v0
	s_delay_alu instid0(VALU_DEP_2)
	v_add_co_ci_u32_e32 v3, vcc_lo, s7, v1, vcc_lo
	v_cvt_f32_i32_e32 v5, s5
	v_add_co_u32 v0, vcc_lo, s0, v0
	global_load_b32 v2, v[2:3], off
	v_sub_f32_e64 v3, 1.0, s4
	v_add_co_ci_u32_e32 v1, vcc_lo, s1, v1, vcc_lo
	s_waitcnt vmcnt(0)
	v_cvt_f32_i32_e32 v4, v2
	s_delay_alu instid0(VALU_DEP_1) | instskip(NEXT) | instid1(VALU_DEP_1)
	v_mul_f32_e32 v3, v3, v4
	v_mul_f32_e32 v3, v3, v5
	s_delay_alu instid0(VALU_DEP_1) | instskip(NEXT) | instid1(VALU_DEP_1)
	v_ceil_f32_e32 v3, v3
	v_cvt_i32_f32_e32 v3, v3
	s_delay_alu instid0(VALU_DEP_1) | instskip(NEXT) | instid1(VALU_DEP_1)
	v_add_nc_u32_e32 v3, s5, v3
	v_sub_nc_u32_e32 v2, v2, v3
	s_delay_alu instid0(VALU_DEP_1)
	v_add_nc_u32_e32 v2, 1, v2
	global_store_b32 v[0:1], v2, off
.LBB6_2:
	s_nop 0
	s_sendmsg sendmsg(MSG_DEALLOC_VGPRS)
	s_endpgm
	.section	.rodata,"a",@progbits
	.p2align	6, 0x0
	.amdhsa_kernel _Z19kernel_createCutofffiPKiPlPii
		.amdhsa_group_segment_fixed_size 0
		.amdhsa_private_segment_fixed_size 0
		.amdhsa_kernarg_size 296
		.amdhsa_user_sgpr_count 15
		.amdhsa_user_sgpr_dispatch_ptr 0
		.amdhsa_user_sgpr_queue_ptr 0
		.amdhsa_user_sgpr_kernarg_segment_ptr 1
		.amdhsa_user_sgpr_dispatch_id 0
		.amdhsa_user_sgpr_private_segment_size 0
		.amdhsa_wavefront_size32 1
		.amdhsa_uses_dynamic_stack 0
		.amdhsa_enable_private_segment 0
		.amdhsa_system_sgpr_workgroup_id_x 1
		.amdhsa_system_sgpr_workgroup_id_y 0
		.amdhsa_system_sgpr_workgroup_id_z 0
		.amdhsa_system_sgpr_workgroup_info 0
		.amdhsa_system_vgpr_workitem_id 0
		.amdhsa_next_free_vgpr 6
		.amdhsa_next_free_sgpr 16
		.amdhsa_reserve_vcc 1
		.amdhsa_float_round_mode_32 0
		.amdhsa_float_round_mode_16_64 0
		.amdhsa_float_denorm_mode_32 3
		.amdhsa_float_denorm_mode_16_64 3
		.amdhsa_dx10_clamp 1
		.amdhsa_ieee_mode 1
		.amdhsa_fp16_overflow 0
		.amdhsa_workgroup_processor_mode 1
		.amdhsa_memory_ordered 1
		.amdhsa_forward_progress 0
		.amdhsa_shared_vgpr_count 0
		.amdhsa_exception_fp_ieee_invalid_op 0
		.amdhsa_exception_fp_denorm_src 0
		.amdhsa_exception_fp_ieee_div_zero 0
		.amdhsa_exception_fp_ieee_overflow 0
		.amdhsa_exception_fp_ieee_underflow 0
		.amdhsa_exception_fp_ieee_inexact 0
		.amdhsa_exception_int_div_zero 0
	.end_amdhsa_kernel
	.text
.Lfunc_end6:
	.size	_Z19kernel_createCutofffiPKiPlPii, .Lfunc_end6-_Z19kernel_createCutofffiPKiPlPii
                                        ; -- End function
	.section	.AMDGPU.csdata,"",@progbits
; Kernel info:
; codeLenInByte = 216
; NumSgprs: 18
; NumVgprs: 6
; ScratchSize: 0
; MemoryBound: 0
; FloatMode: 240
; IeeeMode: 1
; LDSByteSize: 0 bytes/workgroup (compile time only)
; SGPRBlocks: 2
; VGPRBlocks: 0
; NumSGPRsForWavesPerEU: 18
; NumVGPRsForWavesPerEU: 6
; Occupancy: 16
; WaveLimiterHint : 0
; COMPUTE_PGM_RSRC2:SCRATCH_EN: 0
; COMPUTE_PGM_RSRC2:USER_SGPR: 15
; COMPUTE_PGM_RSRC2:TRAP_HANDLER: 0
; COMPUTE_PGM_RSRC2:TGID_X_EN: 1
; COMPUTE_PGM_RSRC2:TGID_Y_EN: 0
; COMPUTE_PGM_RSRC2:TGID_Z_EN: 0
; COMPUTE_PGM_RSRC2:TIDIG_COMP_CNT: 0
	.text
	.protected	_Z17kernel_mergeIndexPKlPKtPtS0_i ; -- Begin function _Z17kernel_mergeIndexPKlPKtPtS0_i
	.globl	_Z17kernel_mergeIndexPKlPKtPtS0_i
	.p2align	8
	.type	_Z17kernel_mergeIndexPKlPKtPtS0_i,@function
_Z17kernel_mergeIndexPKlPKtPtS0_i:      ; @_Z17kernel_mergeIndexPKlPKtPtS0_i
; %bb.0:
	s_clause 0x1
	s_load_b32 s2, s[0:1], 0x34
	s_load_b32 s3, s[0:1], 0x20
	s_waitcnt lgkmcnt(0)
	s_and_b32 s2, s2, 0xffff
	s_delay_alu instid0(SALU_CYCLE_1) | instskip(SKIP_1) | instid1(VALU_DEP_1)
	v_mad_u64_u32 v[1:2], null, s15, s2, v[0:1]
	s_mov_b32 s2, exec_lo
	v_cmpx_gt_i32_e64 s3, v1
	s_cbranch_execz .LBB7_6
; %bb.1:
	s_load_b256 s[0:7], s[0:1], 0x0
	v_ashrrev_i32_e32 v2, 31, v1
	v_mov_b32_e32 v6, 1
	s_delay_alu instid0(VALU_DEP_2) | instskip(SKIP_1) | instid1(VALU_DEP_1)
	v_lshlrev_b64 v[0:1], 3, v[1:2]
	s_waitcnt lgkmcnt(0)
	v_add_co_u32 v2, vcc_lo, s0, v0
	s_delay_alu instid0(VALU_DEP_2)
	v_add_co_ci_u32_e32 v3, vcc_lo, s1, v1, vcc_lo
	v_add_co_u32 v4, vcc_lo, s6, v0
	v_add_co_ci_u32_e32 v5, vcc_lo, s7, v1, vcc_lo
	global_load_b64 v[0:1], v[2:3], off
	s_mov_b32 s1, exec_lo
	global_load_b64 v[1:2], v[4:5], off
	s_waitcnt vmcnt(1)
	v_add_nc_u32_e32 v5, 1, v0
	s_waitcnt vmcnt(0)
	v_add_co_u32 v4, null, v1, v0
	s_delay_alu instid0(VALU_DEP_1)
	v_cmpx_lt_i32_e64 v5, v4
	s_cbranch_execz .LBB7_5
; %bb.2:
	v_dual_mov_b32 v1, 0 :: v_dual_mov_b32 v2, v0
	v_mov_b32_e32 v6, 1
	s_delay_alu instid0(VALU_DEP_2) | instskip(NEXT) | instid1(VALU_DEP_1)
	v_ashrrev_i64 v[1:2], 31, v[1:2]
	v_add_co_u32 v1, vcc_lo, s2, v1
	s_delay_alu instid0(VALU_DEP_2) | instskip(SKIP_2) | instid1(VALU_DEP_1)
	v_add_co_ci_u32_e32 v2, vcc_lo, s3, v2, vcc_lo
	global_load_u16 v7, v[1:2], off
	v_ashrrev_i32_e32 v1, 31, v0
	v_lshlrev_b64 v[0:1], 1, v[0:1]
	s_delay_alu instid0(VALU_DEP_1) | instskip(NEXT) | instid1(VALU_DEP_2)
	v_add_co_u32 v2, vcc_lo, v0, s2
	v_add_co_ci_u32_e32 v3, vcc_lo, s3, v1, vcc_lo
	v_add_co_u32 v0, vcc_lo, s4, v0
	v_add_co_ci_u32_e32 v1, vcc_lo, s5, v1, vcc_lo
	s_delay_alu instid0(VALU_DEP_4) | instskip(NEXT) | instid1(VALU_DEP_4)
	v_add_co_u32 v2, vcc_lo, v2, 2
	v_add_co_ci_u32_e32 v3, vcc_lo, 0, v3, vcc_lo
	s_mov_b32 s2, 0
	.p2align	6
.LBB7_3:                                ; =>This Inner Loop Header: Depth=1
	global_load_u16 v8, v[2:3], off
	v_add_nc_u32_e32 v9, 1, v6
	v_add_nc_u32_e32 v5, 1, v5
	v_add_co_u32 v2, vcc_lo, v2, 2
	v_add_co_ci_u32_e32 v3, vcc_lo, 0, v3, vcc_lo
	s_delay_alu instid0(VALU_DEP_3) | instskip(SKIP_4) | instid1(VALU_DEP_2)
	v_cmp_ge_i32_e32 vcc_lo, v5, v4
	s_or_b32 s2, vcc_lo, s2
	s_waitcnt vmcnt(0)
	v_cmp_eq_u16_e64 s0, v8, v7
	v_mov_b32_e32 v7, v8
	v_cndmask_b32_e64 v10, v6, 0, s0
	v_cndmask_b32_e64 v6, 1, v9, s0
	global_store_b16 v[0:1], v10, off
	v_add_co_u32 v0, s0, v0, 2
	s_delay_alu instid0(VALU_DEP_1)
	v_add_co_ci_u32_e64 v1, s0, 0, v1, s0
	s_and_not1_b32 exec_lo, exec_lo, s2
	s_cbranch_execnz .LBB7_3
; %bb.4:
	s_or_b32 exec_lo, exec_lo, s2
.LBB7_5:
	s_delay_alu instid0(SALU_CYCLE_1) | instskip(SKIP_2) | instid1(VALU_DEP_1)
	s_or_b32 exec_lo, exec_lo, s1
	v_add_co_u32 v0, vcc_lo, 0, 0
	v_add_co_ci_u32_e32 v1, vcc_lo, -1, v4, vcc_lo
	v_ashrrev_i64 v[0:1], 31, v[0:1]
	s_delay_alu instid0(VALU_DEP_1) | instskip(NEXT) | instid1(VALU_DEP_2)
	v_add_co_u32 v0, vcc_lo, s4, v0
	v_add_co_ci_u32_e32 v1, vcc_lo, s5, v1, vcc_lo
	global_store_b16 v[0:1], v6, off
.LBB7_6:
	s_nop 0
	s_sendmsg sendmsg(MSG_DEALLOC_VGPRS)
	s_endpgm
	.section	.rodata,"a",@progbits
	.p2align	6, 0x0
	.amdhsa_kernel _Z17kernel_mergeIndexPKlPKtPtS0_i
		.amdhsa_group_segment_fixed_size 0
		.amdhsa_private_segment_fixed_size 0
		.amdhsa_kernarg_size 296
		.amdhsa_user_sgpr_count 15
		.amdhsa_user_sgpr_dispatch_ptr 0
		.amdhsa_user_sgpr_queue_ptr 0
		.amdhsa_user_sgpr_kernarg_segment_ptr 1
		.amdhsa_user_sgpr_dispatch_id 0
		.amdhsa_user_sgpr_private_segment_size 0
		.amdhsa_wavefront_size32 1
		.amdhsa_uses_dynamic_stack 0
		.amdhsa_enable_private_segment 0
		.amdhsa_system_sgpr_workgroup_id_x 1
		.amdhsa_system_sgpr_workgroup_id_y 0
		.amdhsa_system_sgpr_workgroup_id_z 0
		.amdhsa_system_sgpr_workgroup_info 0
		.amdhsa_system_vgpr_workitem_id 0
		.amdhsa_next_free_vgpr 11
		.amdhsa_next_free_sgpr 16
		.amdhsa_reserve_vcc 1
		.amdhsa_float_round_mode_32 0
		.amdhsa_float_round_mode_16_64 0
		.amdhsa_float_denorm_mode_32 3
		.amdhsa_float_denorm_mode_16_64 3
		.amdhsa_dx10_clamp 1
		.amdhsa_ieee_mode 1
		.amdhsa_fp16_overflow 0
		.amdhsa_workgroup_processor_mode 1
		.amdhsa_memory_ordered 1
		.amdhsa_forward_progress 0
		.amdhsa_shared_vgpr_count 0
		.amdhsa_exception_fp_ieee_invalid_op 0
		.amdhsa_exception_fp_denorm_src 0
		.amdhsa_exception_fp_ieee_div_zero 0
		.amdhsa_exception_fp_ieee_overflow 0
		.amdhsa_exception_fp_ieee_underflow 0
		.amdhsa_exception_fp_ieee_inexact 0
		.amdhsa_exception_int_div_zero 0
	.end_amdhsa_kernel
	.text
.Lfunc_end7:
	.size	_Z17kernel_mergeIndexPKlPKtPtS0_i, .Lfunc_end7-_Z17kernel_mergeIndexPKlPKtPtS0_i
                                        ; -- End function
	.section	.AMDGPU.csdata,"",@progbits
; Kernel info:
; codeLenInByte = 460
; NumSgprs: 18
; NumVgprs: 11
; ScratchSize: 0
; MemoryBound: 0
; FloatMode: 240
; IeeeMode: 1
; LDSByteSize: 0 bytes/workgroup (compile time only)
; SGPRBlocks: 2
; VGPRBlocks: 1
; NumSGPRsForWavesPerEU: 18
; NumVGPRsForWavesPerEU: 11
; Occupancy: 16
; WaveLimiterHint : 1
; COMPUTE_PGM_RSRC2:SCRATCH_EN: 0
; COMPUTE_PGM_RSRC2:USER_SGPR: 15
; COMPUTE_PGM_RSRC2:TRAP_HANDLER: 0
; COMPUTE_PGM_RSRC2:TGID_X_EN: 1
; COMPUTE_PGM_RSRC2:TGID_Y_EN: 0
; COMPUTE_PGM_RSRC2:TGID_Z_EN: 0
; COMPUTE_PGM_RSRC2:TIDIG_COMP_CNT: 0
	.text
	.protected	_Z27kernel_updateRepresentativePiS_i ; -- Begin function _Z27kernel_updateRepresentativePiS_i
	.globl	_Z27kernel_updateRepresentativePiS_i
	.p2align	8
	.type	_Z27kernel_updateRepresentativePiS_i,@function
_Z27kernel_updateRepresentativePiS_i:   ; @_Z27kernel_updateRepresentativePiS_i
; %bb.0:
	s_clause 0x1
	s_load_b128 s[4:7], s[0:1], 0x0
	s_load_b32 s8, s[0:1], 0x10
	s_waitcnt lgkmcnt(0)
	s_load_b32 s0, s[6:7], 0x0
	s_waitcnt lgkmcnt(0)
	s_ashr_i32 s1, s0, 31
	s_add_i32 s9, s0, 1
	s_lshl_b64 s[2:3], s[0:1], 2
	s_max_i32 s1, s8, s9
	s_add_u32 s2, s2, s4
	s_addc_u32 s3, s3, s5
	s_add_u32 s2, s2, 4
	s_addc_u32 s3, s3, 0
	s_branch .LBB8_2
.LBB8_1:                                ;   in Loop: Header=BB8_2 Depth=1
	s_and_not1_b32 vcc_lo, exec_lo, s5
	s_cbranch_vccz .LBB8_4
.LBB8_2:                                ; =>This Inner Loop Header: Depth=1
	s_add_i32 s0, s0, 1
	s_mov_b32 s4, -1
	s_cmp_ge_i32 s0, s8
	s_mov_b32 s5, -1
	s_cbranch_scc1 .LBB8_1
; %bb.3:                                ;   in Loop: Header=BB8_2 Depth=1
	s_load_b32 s4, s[2:3], 0x0
	s_waitcnt lgkmcnt(0)
	s_cmp_lt_i32 s4, 0
	s_mov_b32 s4, 0
	s_cselect_b32 s5, -1, 0
	s_add_u32 s2, s2, 4
	s_addc_u32 s3, s3, 0
	s_branch .LBB8_1
.LBB8_4:
	s_and_not1_b32 vcc_lo, exec_lo, s4
	s_cbranch_vccz .LBB8_6
; %bb.5:
	v_dual_mov_b32 v0, 0 :: v_dual_mov_b32 v1, s0
	s_mov_b32 s1, s0
	global_store_b32 v0, v1, s[2:3] offset:-4
.LBB8_6:
	v_dual_mov_b32 v0, 0 :: v_dual_mov_b32 v1, s1
	global_store_b32 v0, v1, s[6:7]
	s_nop 0
	s_sendmsg sendmsg(MSG_DEALLOC_VGPRS)
	s_endpgm
	.section	.rodata,"a",@progbits
	.p2align	6, 0x0
	.amdhsa_kernel _Z27kernel_updateRepresentativePiS_i
		.amdhsa_group_segment_fixed_size 0
		.amdhsa_private_segment_fixed_size 0
		.amdhsa_kernarg_size 20
		.amdhsa_user_sgpr_count 15
		.amdhsa_user_sgpr_dispatch_ptr 0
		.amdhsa_user_sgpr_queue_ptr 0
		.amdhsa_user_sgpr_kernarg_segment_ptr 1
		.amdhsa_user_sgpr_dispatch_id 0
		.amdhsa_user_sgpr_private_segment_size 0
		.amdhsa_wavefront_size32 1
		.amdhsa_uses_dynamic_stack 0
		.amdhsa_enable_private_segment 0
		.amdhsa_system_sgpr_workgroup_id_x 1
		.amdhsa_system_sgpr_workgroup_id_y 0
		.amdhsa_system_sgpr_workgroup_id_z 0
		.amdhsa_system_sgpr_workgroup_info 0
		.amdhsa_system_vgpr_workitem_id 0
		.amdhsa_next_free_vgpr 2
		.amdhsa_next_free_sgpr 10
		.amdhsa_reserve_vcc 1
		.amdhsa_float_round_mode_32 0
		.amdhsa_float_round_mode_16_64 0
		.amdhsa_float_denorm_mode_32 3
		.amdhsa_float_denorm_mode_16_64 3
		.amdhsa_dx10_clamp 1
		.amdhsa_ieee_mode 1
		.amdhsa_fp16_overflow 0
		.amdhsa_workgroup_processor_mode 1
		.amdhsa_memory_ordered 1
		.amdhsa_forward_progress 0
		.amdhsa_shared_vgpr_count 0
		.amdhsa_exception_fp_ieee_invalid_op 0
		.amdhsa_exception_fp_denorm_src 0
		.amdhsa_exception_fp_ieee_div_zero 0
		.amdhsa_exception_fp_ieee_overflow 0
		.amdhsa_exception_fp_ieee_underflow 0
		.amdhsa_exception_fp_ieee_inexact 0
		.amdhsa_exception_int_div_zero 0
	.end_amdhsa_kernel
	.text
.Lfunc_end8:
	.size	_Z27kernel_updateRepresentativePiS_i, .Lfunc_end8-_Z27kernel_updateRepresentativePiS_i
                                        ; -- End function
	.section	.AMDGPU.csdata,"",@progbits
; Kernel info:
; codeLenInByte = 192
; NumSgprs: 12
; NumVgprs: 2
; ScratchSize: 0
; MemoryBound: 0
; FloatMode: 240
; IeeeMode: 1
; LDSByteSize: 0 bytes/workgroup (compile time only)
; SGPRBlocks: 1
; VGPRBlocks: 0
; NumSGPRsForWavesPerEU: 12
; NumVGPRsForWavesPerEU: 2
; Occupancy: 16
; WaveLimiterHint : 0
; COMPUTE_PGM_RSRC2:SCRATCH_EN: 0
; COMPUTE_PGM_RSRC2:USER_SGPR: 15
; COMPUTE_PGM_RSRC2:TRAP_HANDLER: 0
; COMPUTE_PGM_RSRC2:TGID_X_EN: 1
; COMPUTE_PGM_RSRC2:TGID_Y_EN: 0
; COMPUTE_PGM_RSRC2:TGID_Z_EN: 0
; COMPUTE_PGM_RSRC2:TIDIG_COMP_CNT: 0
	.text
	.protected	_Z16kernel_makeTablePKlPKtS2_S0_Pti ; -- Begin function _Z16kernel_makeTablePKlPKtS2_S0_Pti
	.globl	_Z16kernel_makeTablePKlPKtS2_S0_Pti
	.p2align	8
	.type	_Z16kernel_makeTablePKlPKtS2_S0_Pti,@function
_Z16kernel_makeTablePKlPKtS2_S0_Pti:    ; @_Z16kernel_makeTablePKlPKtS2_S0_Pti
; %bb.0:
	s_clause 0x2
	s_load_b32 s2, s[0:1], 0x28
	s_load_b32 s12, s[0:1], 0x3c
	s_load_b256 s[4:11], s[0:1], 0x0
	s_waitcnt lgkmcnt(0)
	s_ashr_i32 s3, s2, 31
	s_and_b32 s12, s12, 0xffff
	s_lshl_b64 s[2:3], s[2:3], 3
	s_mul_i32 s15, s15, s12
	s_add_u32 s4, s4, s2
	s_addc_u32 s5, s5, s3
	s_add_u32 s2, s10, s2
	s_load_b32 s4, s[4:5], 0x0
	s_addc_u32 s3, s11, s3
	s_load_b32 s2, s[2:3], 0x0
	s_waitcnt lgkmcnt(0)
	v_add3_u32 v0, s4, s15, v0
	s_add_i32 s4, s2, s4
	s_mov_b32 s2, exec_lo
	s_delay_alu instid0(VALU_DEP_1)
	v_cmpx_gt_i32_e64 s4, v0
	s_cbranch_execz .LBB9_5
; %bb.1:
	v_ashrrev_i32_e32 v1, 31, v0
	s_load_b64 s[2:3], s[0:1], 0x20
	s_mov_b32 s1, 0
	s_delay_alu instid0(VALU_DEP_1) | instskip(NEXT) | instid1(VALU_DEP_1)
	v_lshlrev_b64 v[3:4], 1, v[0:1]
	v_add_co_u32 v1, vcc_lo, s8, v3
	s_delay_alu instid0(VALU_DEP_2)
	v_add_co_ci_u32_e32 v2, vcc_lo, s9, v4, vcc_lo
	v_add_co_u32 v3, vcc_lo, s6, v3
	v_add_co_ci_u32_e32 v4, vcc_lo, s7, v4, vcc_lo
	s_set_inst_prefetch_distance 0x1
	s_branch .LBB9_3
	.p2align	6
.LBB9_2:                                ;   in Loop: Header=BB9_3 Depth=1
	s_or_b32 exec_lo, exec_lo, s0
	v_add_nc_u32_e32 v0, 0x4000, v0
	v_add_co_u32 v1, vcc_lo, 0x8000, v1
	v_add_co_ci_u32_e32 v2, vcc_lo, 0, v2, vcc_lo
	s_delay_alu instid0(VALU_DEP_3) | instskip(SKIP_1) | instid1(VALU_DEP_1)
	v_cmp_le_i32_e32 vcc_lo, s4, v0
	v_add_co_u32 v3, s0, 0x8000, v3
	v_add_co_ci_u32_e64 v4, s0, 0, v4, s0
	s_or_b32 s1, vcc_lo, s1
	s_delay_alu instid0(SALU_CYCLE_1)
	s_and_not1_b32 exec_lo, exec_lo, s1
	s_cbranch_execz .LBB9_5
.LBB9_3:                                ; =>This Inner Loop Header: Depth=1
	global_load_u16 v5, v[1:2], off
	s_mov_b32 s0, exec_lo
	s_waitcnt vmcnt(0)
	v_cmpx_ne_u16_e32 0, v5
	s_cbranch_execz .LBB9_2
; %bb.4:                                ;   in Loop: Header=BB9_3 Depth=1
	global_load_u16 v6, v[3:4], off
	s_waitcnt vmcnt(0)
	v_lshlrev_b32_e32 v6, 1, v6
	s_waitcnt lgkmcnt(0)
	global_store_b16 v6, v5, s[2:3]
	s_branch .LBB9_2
.LBB9_5:
	s_set_inst_prefetch_distance 0x2
	s_nop 0
	s_sendmsg sendmsg(MSG_DEALLOC_VGPRS)
	s_endpgm
	.section	.rodata,"a",@progbits
	.p2align	6, 0x0
	.amdhsa_kernel _Z16kernel_makeTablePKlPKtS2_S0_Pti
		.amdhsa_group_segment_fixed_size 0
		.amdhsa_private_segment_fixed_size 0
		.amdhsa_kernarg_size 304
		.amdhsa_user_sgpr_count 15
		.amdhsa_user_sgpr_dispatch_ptr 0
		.amdhsa_user_sgpr_queue_ptr 0
		.amdhsa_user_sgpr_kernarg_segment_ptr 1
		.amdhsa_user_sgpr_dispatch_id 0
		.amdhsa_user_sgpr_private_segment_size 0
		.amdhsa_wavefront_size32 1
		.amdhsa_uses_dynamic_stack 0
		.amdhsa_enable_private_segment 0
		.amdhsa_system_sgpr_workgroup_id_x 1
		.amdhsa_system_sgpr_workgroup_id_y 0
		.amdhsa_system_sgpr_workgroup_id_z 0
		.amdhsa_system_sgpr_workgroup_info 0
		.amdhsa_system_vgpr_workitem_id 0
		.amdhsa_next_free_vgpr 7
		.amdhsa_next_free_sgpr 16
		.amdhsa_reserve_vcc 1
		.amdhsa_float_round_mode_32 0
		.amdhsa_float_round_mode_16_64 0
		.amdhsa_float_denorm_mode_32 3
		.amdhsa_float_denorm_mode_16_64 3
		.amdhsa_dx10_clamp 1
		.amdhsa_ieee_mode 1
		.amdhsa_fp16_overflow 0
		.amdhsa_workgroup_processor_mode 1
		.amdhsa_memory_ordered 1
		.amdhsa_forward_progress 0
		.amdhsa_shared_vgpr_count 0
		.amdhsa_exception_fp_ieee_invalid_op 0
		.amdhsa_exception_fp_denorm_src 0
		.amdhsa_exception_fp_ieee_div_zero 0
		.amdhsa_exception_fp_ieee_overflow 0
		.amdhsa_exception_fp_ieee_underflow 0
		.amdhsa_exception_fp_ieee_inexact 0
		.amdhsa_exception_int_div_zero 0
	.end_amdhsa_kernel
	.text
.Lfunc_end9:
	.size	_Z16kernel_makeTablePKlPKtS2_S0_Pti, .Lfunc_end9-_Z16kernel_makeTablePKlPKtS2_S0_Pti
                                        ; -- End function
	.section	.AMDGPU.csdata,"",@progbits
; Kernel info:
; codeLenInByte = 328
; NumSgprs: 18
; NumVgprs: 7
; ScratchSize: 0
; MemoryBound: 0
; FloatMode: 240
; IeeeMode: 1
; LDSByteSize: 0 bytes/workgroup (compile time only)
; SGPRBlocks: 2
; VGPRBlocks: 0
; NumSGPRsForWavesPerEU: 18
; NumVGPRsForWavesPerEU: 7
; Occupancy: 16
; WaveLimiterHint : 1
; COMPUTE_PGM_RSRC2:SCRATCH_EN: 0
; COMPUTE_PGM_RSRC2:USER_SGPR: 15
; COMPUTE_PGM_RSRC2:TRAP_HANDLER: 0
; COMPUTE_PGM_RSRC2:TGID_X_EN: 1
; COMPUTE_PGM_RSRC2:TGID_Y_EN: 0
; COMPUTE_PGM_RSRC2:TGID_Z_EN: 0
; COMPUTE_PGM_RSRC2:TIDIG_COMP_CNT: 0
	.text
	.protected	_Z17kernel_cleanTablePKlPKtS2_S0_Pti ; -- Begin function _Z17kernel_cleanTablePKlPKtS2_S0_Pti
	.globl	_Z17kernel_cleanTablePKlPKtS2_S0_Pti
	.p2align	8
	.type	_Z17kernel_cleanTablePKlPKtS2_S0_Pti,@function
_Z17kernel_cleanTablePKlPKtS2_S0_Pti:   ; @_Z17kernel_cleanTablePKlPKtS2_S0_Pti
; %bb.0:
	s_clause 0x2
	s_load_b32 s2, s[0:1], 0x28
	s_load_b32 s12, s[0:1], 0x3c
	s_load_b256 s[4:11], s[0:1], 0x0
	s_waitcnt lgkmcnt(0)
	s_ashr_i32 s3, s2, 31
	s_and_b32 s12, s12, 0xffff
	s_lshl_b64 s[2:3], s[2:3], 3
	s_mul_i32 s15, s15, s12
	s_add_u32 s4, s4, s2
	s_addc_u32 s5, s5, s3
	s_add_u32 s2, s10, s2
	s_load_b32 s4, s[4:5], 0x0
	s_addc_u32 s3, s11, s3
	s_load_b32 s2, s[2:3], 0x0
	s_waitcnt lgkmcnt(0)
	v_add3_u32 v0, s4, s15, v0
	s_add_i32 s4, s2, s4
	s_mov_b32 s2, exec_lo
	s_delay_alu instid0(VALU_DEP_1)
	v_cmpx_gt_i32_e64 s4, v0
	s_cbranch_execz .LBB10_5
; %bb.1:
	v_ashrrev_i32_e32 v1, 31, v0
	s_load_b64 s[2:3], s[0:1], 0x20
	v_mov_b32_e32 v5, 0
	s_mov_b32 s1, 0
	s_delay_alu instid0(VALU_DEP_2) | instskip(NEXT) | instid1(VALU_DEP_1)
	v_lshlrev_b64 v[3:4], 1, v[0:1]
	v_add_co_u32 v1, vcc_lo, s8, v3
	s_delay_alu instid0(VALU_DEP_2)
	v_add_co_ci_u32_e32 v2, vcc_lo, s9, v4, vcc_lo
	v_add_co_u32 v3, vcc_lo, s6, v3
	v_add_co_ci_u32_e32 v4, vcc_lo, s7, v4, vcc_lo
	s_set_inst_prefetch_distance 0x1
	s_branch .LBB10_3
	.p2align	6
.LBB10_2:                               ;   in Loop: Header=BB10_3 Depth=1
	s_or_b32 exec_lo, exec_lo, s0
	v_add_nc_u32_e32 v0, 0x4000, v0
	v_add_co_u32 v1, vcc_lo, 0x8000, v1
	v_add_co_ci_u32_e32 v2, vcc_lo, 0, v2, vcc_lo
	s_delay_alu instid0(VALU_DEP_3) | instskip(SKIP_1) | instid1(VALU_DEP_1)
	v_cmp_le_i32_e32 vcc_lo, s4, v0
	v_add_co_u32 v3, s0, 0x8000, v3
	v_add_co_ci_u32_e64 v4, s0, 0, v4, s0
	s_or_b32 s1, vcc_lo, s1
	s_delay_alu instid0(SALU_CYCLE_1)
	s_and_not1_b32 exec_lo, exec_lo, s1
	s_cbranch_execz .LBB10_5
.LBB10_3:                               ; =>This Inner Loop Header: Depth=1
	global_load_u16 v6, v[1:2], off
	s_mov_b32 s0, exec_lo
	s_waitcnt vmcnt(0)
	v_cmpx_ne_u16_e32 0, v6
	s_cbranch_execz .LBB10_2
; %bb.4:                                ;   in Loop: Header=BB10_3 Depth=1
	global_load_u16 v6, v[3:4], off
	s_waitcnt vmcnt(0)
	v_lshlrev_b32_e32 v6, 1, v6
	s_waitcnt lgkmcnt(0)
	global_store_b16 v6, v5, s[2:3]
	s_branch .LBB10_2
.LBB10_5:
	s_set_inst_prefetch_distance 0x2
	s_nop 0
	s_sendmsg sendmsg(MSG_DEALLOC_VGPRS)
	s_endpgm
	.section	.rodata,"a",@progbits
	.p2align	6, 0x0
	.amdhsa_kernel _Z17kernel_cleanTablePKlPKtS2_S0_Pti
		.amdhsa_group_segment_fixed_size 0
		.amdhsa_private_segment_fixed_size 0
		.amdhsa_kernarg_size 304
		.amdhsa_user_sgpr_count 15
		.amdhsa_user_sgpr_dispatch_ptr 0
		.amdhsa_user_sgpr_queue_ptr 0
		.amdhsa_user_sgpr_kernarg_segment_ptr 1
		.amdhsa_user_sgpr_dispatch_id 0
		.amdhsa_user_sgpr_private_segment_size 0
		.amdhsa_wavefront_size32 1
		.amdhsa_uses_dynamic_stack 0
		.amdhsa_enable_private_segment 0
		.amdhsa_system_sgpr_workgroup_id_x 1
		.amdhsa_system_sgpr_workgroup_id_y 0
		.amdhsa_system_sgpr_workgroup_id_z 0
		.amdhsa_system_sgpr_workgroup_info 0
		.amdhsa_system_vgpr_workitem_id 0
		.amdhsa_next_free_vgpr 7
		.amdhsa_next_free_sgpr 16
		.amdhsa_reserve_vcc 1
		.amdhsa_float_round_mode_32 0
		.amdhsa_float_round_mode_16_64 0
		.amdhsa_float_denorm_mode_32 3
		.amdhsa_float_denorm_mode_16_64 3
		.amdhsa_dx10_clamp 1
		.amdhsa_ieee_mode 1
		.amdhsa_fp16_overflow 0
		.amdhsa_workgroup_processor_mode 1
		.amdhsa_memory_ordered 1
		.amdhsa_forward_progress 0
		.amdhsa_shared_vgpr_count 0
		.amdhsa_exception_fp_ieee_invalid_op 0
		.amdhsa_exception_fp_denorm_src 0
		.amdhsa_exception_fp_ieee_div_zero 0
		.amdhsa_exception_fp_ieee_overflow 0
		.amdhsa_exception_fp_ieee_underflow 0
		.amdhsa_exception_fp_ieee_inexact 0
		.amdhsa_exception_int_div_zero 0
	.end_amdhsa_kernel
	.text
.Lfunc_end10:
	.size	_Z17kernel_cleanTablePKlPKtS2_S0_Pti, .Lfunc_end10-_Z17kernel_cleanTablePKlPKtS2_S0_Pti
                                        ; -- End function
	.section	.AMDGPU.csdata,"",@progbits
; Kernel info:
; codeLenInByte = 332
; NumSgprs: 18
; NumVgprs: 7
; ScratchSize: 0
; MemoryBound: 0
; FloatMode: 240
; IeeeMode: 1
; LDSByteSize: 0 bytes/workgroup (compile time only)
; SGPRBlocks: 2
; VGPRBlocks: 0
; NumSGPRsForWavesPerEU: 18
; NumVGPRsForWavesPerEU: 7
; Occupancy: 16
; WaveLimiterHint : 1
; COMPUTE_PGM_RSRC2:SCRATCH_EN: 0
; COMPUTE_PGM_RSRC2:USER_SGPR: 15
; COMPUTE_PGM_RSRC2:TRAP_HANDLER: 0
; COMPUTE_PGM_RSRC2:TGID_X_EN: 1
; COMPUTE_PGM_RSRC2:TGID_Y_EN: 0
; COMPUTE_PGM_RSRC2:TGID_Z_EN: 0
; COMPUTE_PGM_RSRC2:TIDIG_COMP_CNT: 0
	.text
	.protected	_Z12kernel_magicfPKiS0_Piii ; -- Begin function _Z12kernel_magicfPKiS0_Piii
	.globl	_Z12kernel_magicfPKiS0_Piii
	.p2align	8
	.type	_Z12kernel_magicfPKiS0_Piii,@function
_Z12kernel_magicfPKiS0_Piii:            ; @_Z12kernel_magicfPKiS0_Piii
; %bb.0:
	s_clause 0x1
	s_load_b32 s4, s[0:1], 0x34
	s_load_b64 s[2:3], s[0:1], 0x20
	s_waitcnt lgkmcnt(0)
	s_and_b32 s4, s4, 0xffff
	s_delay_alu instid0(SALU_CYCLE_1) | instskip(NEXT) | instid1(VALU_DEP_1)
	v_mad_u64_u32 v[4:5], null, s15, s4, v[0:1]
	v_cmp_gt_i32_e32 vcc_lo, s3, v4
	s_and_saveexec_b32 s3, vcc_lo
	s_cbranch_execz .LBB11_4
; %bb.1:
	s_load_b64 s[4:5], s[0:1], 0x18
	v_ashrrev_i32_e32 v5, 31, v4
	s_delay_alu instid0(VALU_DEP_1) | instskip(SKIP_1) | instid1(VALU_DEP_1)
	v_lshlrev_b64 v[2:3], 2, v[4:5]
	s_waitcnt lgkmcnt(0)
	v_add_co_u32 v0, vcc_lo, s4, v2
	s_delay_alu instid0(VALU_DEP_2)
	v_add_co_ci_u32_e32 v1, vcc_lo, s5, v3, vcc_lo
	global_load_b32 v5, v[0:1], off
	s_waitcnt vmcnt(0)
	v_cmp_gt_i32_e32 vcc_lo, 0, v5
	s_and_b32 exec_lo, exec_lo, vcc_lo
	s_cbranch_execz .LBB11_4
; %bb.2:
	s_clause 0x1
	s_load_b128 s[4:7], s[0:1], 0x8
	s_load_b32 s8, s[0:1], 0x0
	v_lshlrev_b32_e32 v4, 2, v4
	s_lshl_b32 s0, s2, 2
	s_delay_alu instid0(SALU_CYCLE_1) | instskip(NEXT) | instid1(VALU_DEP_1)
	s_ashr_i32 s1, s0, 31
	v_ashrrev_i32_e32 v5, 31, v4
	s_lshl_b64 s[0:1], s[0:1], 2
	s_delay_alu instid0(VALU_DEP_1) | instskip(SKIP_3) | instid1(VALU_DEP_3)
	v_lshlrev_b64 v[4:5], 2, v[4:5]
	s_waitcnt lgkmcnt(0)
	v_add_co_u32 v2, vcc_lo, s4, v2
	v_add_co_ci_u32_e32 v3, vcc_lo, s5, v3, vcc_lo
	v_add_co_u32 v4, vcc_lo, s6, v4
	s_delay_alu instid0(VALU_DEP_4)
	v_add_co_ci_u32_e32 v5, vcc_lo, s7, v5, vcc_lo
	s_add_u32 s0, s6, s0
	global_load_b32 v6, v[2:3], off
	global_load_b128 v[2:5], v[4:5], off
	s_addc_u32 s1, s7, s1
	s_load_b128 s[0:3], s[0:1], 0x0
	s_waitcnt vmcnt(1)
	v_cvt_f32_i32_e32 v6, v6
	s_waitcnt vmcnt(0) lgkmcnt(0)
	v_min_i32_e32 v5, s3, v5
	v_min_i32_e32 v3, s1, v3
	;; [unrolled: 1-line block ×4, first 2 shown]
	s_delay_alu instid0(VALU_DEP_3) | instskip(NEXT) | instid1(VALU_DEP_1)
	v_dual_mul_f32 v6, s8, v6 :: v_dual_add_nc_u32 v3, v3, v5
	v_ceil_f32_e32 v5, v6
	s_delay_alu instid0(VALU_DEP_2) | instskip(NEXT) | instid1(VALU_DEP_2)
	v_add3_u32 v2, v2, v4, v3
	v_cvt_i32_f32_e32 v3, v5
	s_delay_alu instid0(VALU_DEP_1)
	v_cmp_gt_i32_e32 vcc_lo, v2, v3
	s_and_b32 exec_lo, exec_lo, vcc_lo
	s_cbranch_execz .LBB11_4
; %bb.3:
	v_mov_b32_e32 v2, -2
	global_store_b32 v[0:1], v2, off
.LBB11_4:
	s_nop 0
	s_sendmsg sendmsg(MSG_DEALLOC_VGPRS)
	s_endpgm
	.section	.rodata,"a",@progbits
	.p2align	6, 0x0
	.amdhsa_kernel _Z12kernel_magicfPKiS0_Piii
		.amdhsa_group_segment_fixed_size 0
		.amdhsa_private_segment_fixed_size 0
		.amdhsa_kernarg_size 296
		.amdhsa_user_sgpr_count 15
		.amdhsa_user_sgpr_dispatch_ptr 0
		.amdhsa_user_sgpr_queue_ptr 0
		.amdhsa_user_sgpr_kernarg_segment_ptr 1
		.amdhsa_user_sgpr_dispatch_id 0
		.amdhsa_user_sgpr_private_segment_size 0
		.amdhsa_wavefront_size32 1
		.amdhsa_uses_dynamic_stack 0
		.amdhsa_enable_private_segment 0
		.amdhsa_system_sgpr_workgroup_id_x 1
		.amdhsa_system_sgpr_workgroup_id_y 0
		.amdhsa_system_sgpr_workgroup_id_z 0
		.amdhsa_system_sgpr_workgroup_info 0
		.amdhsa_system_vgpr_workitem_id 0
		.amdhsa_next_free_vgpr 7
		.amdhsa_next_free_sgpr 16
		.amdhsa_reserve_vcc 1
		.amdhsa_float_round_mode_32 0
		.amdhsa_float_round_mode_16_64 0
		.amdhsa_float_denorm_mode_32 3
		.amdhsa_float_denorm_mode_16_64 3
		.amdhsa_dx10_clamp 1
		.amdhsa_ieee_mode 1
		.amdhsa_fp16_overflow 0
		.amdhsa_workgroup_processor_mode 1
		.amdhsa_memory_ordered 1
		.amdhsa_forward_progress 0
		.amdhsa_shared_vgpr_count 0
		.amdhsa_exception_fp_ieee_invalid_op 0
		.amdhsa_exception_fp_denorm_src 0
		.amdhsa_exception_fp_ieee_div_zero 0
		.amdhsa_exception_fp_ieee_overflow 0
		.amdhsa_exception_fp_ieee_underflow 0
		.amdhsa_exception_fp_ieee_inexact 0
		.amdhsa_exception_int_div_zero 0
	.end_amdhsa_kernel
	.text
.Lfunc_end11:
	.size	_Z12kernel_magicfPKiS0_Piii, .Lfunc_end11-_Z12kernel_magicfPKiS0_Piii
                                        ; -- End function
	.section	.AMDGPU.csdata,"",@progbits
; Kernel info:
; codeLenInByte = 344
; NumSgprs: 18
; NumVgprs: 7
; ScratchSize: 0
; MemoryBound: 0
; FloatMode: 240
; IeeeMode: 1
; LDSByteSize: 0 bytes/workgroup (compile time only)
; SGPRBlocks: 2
; VGPRBlocks: 0
; NumSGPRsForWavesPerEU: 18
; NumVGPRsForWavesPerEU: 7
; Occupancy: 16
; WaveLimiterHint : 0
; COMPUTE_PGM_RSRC2:SCRATCH_EN: 0
; COMPUTE_PGM_RSRC2:USER_SGPR: 15
; COMPUTE_PGM_RSRC2:TRAP_HANDLER: 0
; COMPUTE_PGM_RSRC2:TGID_X_EN: 1
; COMPUTE_PGM_RSRC2:TGID_Y_EN: 0
; COMPUTE_PGM_RSRC2:TGID_Z_EN: 0
; COMPUTE_PGM_RSRC2:TIDIG_COMP_CNT: 0
	.text
	.protected	_Z13kernel_filterfiPKiPKlPKtS4_S2_S0_PiS4_i ; -- Begin function _Z13kernel_filterfiPKiPKlPKtS4_S2_S0_PiS4_i
	.globl	_Z13kernel_filterfiPKiPKlPKtS4_S2_S0_PiS4_i
	.p2align	8
	.type	_Z13kernel_filterfiPKiPKlPKtS4_S2_S0_PiS4_i,@function
_Z13kernel_filterfiPKiPKlPKtS4_S2_S0_PiS4_i: ; @_Z13kernel_filterfiPKiPKlPKtS4_S2_S0_PiS4_i
; %bb.0:
	s_load_b32 s2, s[0:1], 0x48
	s_waitcnt lgkmcnt(0)
	s_cmp_ge_i32 s15, s2
	s_cbranch_scc1 .LBB12_8
; %bb.1:
	s_mov_b32 s16, s15
	s_load_b128 s[12:15], s[0:1], 0x30
	s_ashr_i32 s17, s16, 31
	s_delay_alu instid0(SALU_CYCLE_1)
	s_lshl_b64 s[20:21], s[16:17], 2
	s_waitcnt lgkmcnt(0)
	s_add_u32 s2, s14, s20
	s_addc_u32 s3, s15, s21
	s_load_b32 s4, s[2:3], 0x0
	s_waitcnt lgkmcnt(0)
	s_cmp_lg_u32 s4, -2
	s_cbranch_scc1 .LBB12_8
; %bb.2:
	s_load_b256 s[4:11], s[0:1], 0x10
	s_lshl_b64 s[14:15], s[16:17], 3
	v_lshlrev_b32_e32 v5, 2, v0
	v_mov_b32_e32 v7, 0
	s_waitcnt lgkmcnt(0)
	s_add_u32 s4, s4, s14
	s_addc_u32 s5, s5, s15
	s_add_u32 s10, s10, s14
	s_load_b32 s5, s[4:5], 0x0
	s_addc_u32 s11, s11, s15
	s_load_b32 s4, s[10:11], 0x0
	s_load_b128 s[16:19], s[0:1], 0x40
	s_mov_b32 s1, exec_lo
	ds_store_b32 v5, v7
	s_waitcnt lgkmcnt(0)
	v_add_nc_u32_e32 v6, s5, v0
	s_add_i32 s4, s4, s5
	s_delay_alu instid0(VALU_DEP_1) | instid1(SALU_CYCLE_1)
	v_cmpx_gt_i32_e64 s4, v6
	s_cbranch_execz .LBB12_6
; %bb.3:
	s_ashr_i32 s0, s5, 31
	v_add_co_u32 v1, s5, s5, v0
	s_delay_alu instid0(VALU_DEP_1) | instskip(SKIP_1) | instid1(VALU_DEP_1)
	v_add_co_ci_u32_e64 v2, null, s0, 0, s5
	s_mov_b32 s5, 0
	v_lshlrev_b64 v[3:4], 1, v[1:2]
	s_delay_alu instid0(VALU_DEP_1) | instskip(NEXT) | instid1(VALU_DEP_2)
	v_add_co_u32 v1, vcc_lo, s6, v3
	v_add_co_ci_u32_e32 v2, vcc_lo, s7, v4, vcc_lo
	v_add_co_u32 v3, vcc_lo, s8, v3
	v_add_co_ci_u32_e32 v4, vcc_lo, s9, v4, vcc_lo
	.p2align	6
.LBB12_4:                               ; =>This Inner Loop Header: Depth=1
	global_load_u16 v8, v[1:2], off
	v_add_nc_u32_e32 v6, 0x80, v6
	v_add_co_u32 v1, vcc_lo, 0x100, v1
	v_add_co_ci_u32_e32 v2, vcc_lo, 0, v2, vcc_lo
	s_delay_alu instid0(VALU_DEP_3) | instskip(NEXT) | instid1(VALU_DEP_1)
	v_cmp_le_i32_e64 s0, s4, v6
	s_or_b32 s5, s0, s5
	s_waitcnt vmcnt(0)
	v_lshlrev_b32_e32 v8, 1, v8
	global_load_u16 v9, v[3:4], off
	global_load_u16 v8, v8, s[16:17]
	v_add_co_u32 v3, vcc_lo, 0x100, v3
	v_add_co_ci_u32_e32 v4, vcc_lo, 0, v4, vcc_lo
	s_waitcnt vmcnt(0)
	v_min_u16 v8, v8, v9
	s_delay_alu instid0(VALU_DEP_1) | instskip(NEXT) | instid1(VALU_DEP_1)
	v_and_b32_e32 v8, 0xffff, v8
	v_add_nc_u32_e32 v7, v7, v8
	s_and_not1_b32 exec_lo, exec_lo, s5
	s_cbranch_execnz .LBB12_4
; %bb.5:
	s_or_b32 exec_lo, exec_lo, s5
	ds_store_b32 v5, v7
.LBB12_6:
	s_or_b32 exec_lo, exec_lo, s1
	s_waitcnt lgkmcnt(0)
	s_barrier
	buffer_gl0_inv
	s_mov_b32 s0, exec_lo
	v_cmpx_eq_u32_e32 0, v0
	s_cbranch_execz .LBB12_8
; %bb.7:
	v_mov_b32_e32 v8, 0
	s_add_u32 s0, s12, s20
	s_addc_u32 s1, s13, s21
	ds_load_b128 v[0:3], v8
	ds_load_b128 v[4:7], v8 offset:16
	s_load_b32 s0, s[0:1], 0x0
	s_waitcnt lgkmcnt(0)
	v_add_nc_u32_e32 v0, v0, v1
	s_delay_alu instid0(VALU_DEP_1) | instskip(NEXT) | instid1(VALU_DEP_1)
	v_add_nc_u32_e32 v0, v0, v2
	v_add_nc_u32_e32 v0, v0, v3
	s_delay_alu instid0(VALU_DEP_1) | instskip(NEXT) | instid1(VALU_DEP_1)
	v_add_nc_u32_e32 v4, v0, v4
	;; [unrolled: 3-line block ×3, first 2 shown]
	v_add_nc_u32_e32 v9, v4, v7
	ds_load_b128 v[0:3], v8 offset:32
	ds_load_b128 v[4:7], v8 offset:48
	s_waitcnt lgkmcnt(1)
	v_add_nc_u32_e32 v0, v9, v0
	s_delay_alu instid0(VALU_DEP_1) | instskip(NEXT) | instid1(VALU_DEP_1)
	v_add_nc_u32_e32 v0, v0, v1
	v_add_nc_u32_e32 v0, v0, v2
	s_delay_alu instid0(VALU_DEP_1) | instskip(SKIP_1) | instid1(VALU_DEP_1)
	v_add_nc_u32_e32 v0, v0, v3
	s_waitcnt lgkmcnt(0)
	v_add_nc_u32_e32 v4, v0, v4
	ds_load_b128 v[0:3], v8 offset:64
	v_add_nc_u32_e32 v4, v4, v5
	s_delay_alu instid0(VALU_DEP_1) | instskip(NEXT) | instid1(VALU_DEP_1)
	v_add_nc_u32_e32 v4, v4, v6
	v_add_nc_u32_e32 v9, v4, v7
	ds_load_b128 v[4:7], v8 offset:80
	s_waitcnt lgkmcnt(1)
	v_add_nc_u32_e32 v0, v9, v0
	s_delay_alu instid0(VALU_DEP_1) | instskip(NEXT) | instid1(VALU_DEP_1)
	v_add_nc_u32_e32 v0, v0, v1
	v_add_nc_u32_e32 v0, v0, v2
	s_delay_alu instid0(VALU_DEP_1) | instskip(SKIP_1) | instid1(VALU_DEP_1)
	v_add_nc_u32_e32 v0, v0, v3
	s_waitcnt lgkmcnt(0)
	v_add_nc_u32_e32 v4, v0, v4
	ds_load_b128 v[0:3], v8 offset:96
	v_add_nc_u32_e32 v4, v4, v5
	s_delay_alu instid0(VALU_DEP_1) | instskip(NEXT) | instid1(VALU_DEP_1)
	v_add_nc_u32_e32 v4, v4, v6
	v_add_nc_u32_e32 v9, v4, v7
	;; [unrolled: 15-line block ×14, first 2 shown]
	ds_load_b128 v[4:7], v8 offset:496
	s_waitcnt lgkmcnt(1)
	v_add_nc_u32_e32 v0, v9, v0
	s_delay_alu instid0(VALU_DEP_1) | instskip(NEXT) | instid1(VALU_DEP_1)
	v_add_nc_u32_e32 v0, v0, v1
	v_add_nc_u32_e32 v0, v0, v2
	s_delay_alu instid0(VALU_DEP_1) | instskip(SKIP_1) | instid1(VALU_DEP_1)
	v_add_nc_u32_e32 v0, v0, v3
	s_waitcnt lgkmcnt(0)
	v_add_nc_u32_e32 v0, v0, v4
	s_delay_alu instid0(VALU_DEP_1) | instskip(NEXT) | instid1(VALU_DEP_1)
	v_add_nc_u32_e32 v0, v0, v5
	v_add_nc_u32_e32 v0, v0, v6
	s_delay_alu instid0(VALU_DEP_1) | instskip(NEXT) | instid1(VALU_DEP_1)
	v_add_nc_u32_e32 v0, v0, v7
	v_cmp_lt_i32_e32 vcc_lo, s0, v0
	v_cndmask_b32_e64 v1, -1, -3, vcc_lo
	ds_store_b32 v8, v0
	s_waitcnt lgkmcnt(0)
	global_store_b32 v8, v1, s[2:3]
.LBB12_8:
	s_nop 0
	s_sendmsg sendmsg(MSG_DEALLOC_VGPRS)
	s_endpgm
	.section	.rodata,"a",@progbits
	.p2align	6, 0x0
	.amdhsa_kernel _Z13kernel_filterfiPKiPKlPKtS4_S2_S0_PiS4_i
		.amdhsa_group_segment_fixed_size 512
		.amdhsa_private_segment_fixed_size 0
		.amdhsa_kernarg_size 76
		.amdhsa_user_sgpr_count 15
		.amdhsa_user_sgpr_dispatch_ptr 0
		.amdhsa_user_sgpr_queue_ptr 0
		.amdhsa_user_sgpr_kernarg_segment_ptr 1
		.amdhsa_user_sgpr_dispatch_id 0
		.amdhsa_user_sgpr_private_segment_size 0
		.amdhsa_wavefront_size32 1
		.amdhsa_uses_dynamic_stack 0
		.amdhsa_enable_private_segment 0
		.amdhsa_system_sgpr_workgroup_id_x 1
		.amdhsa_system_sgpr_workgroup_id_y 0
		.amdhsa_system_sgpr_workgroup_id_z 0
		.amdhsa_system_sgpr_workgroup_info 0
		.amdhsa_system_vgpr_workitem_id 0
		.amdhsa_next_free_vgpr 10
		.amdhsa_next_free_sgpr 22
		.amdhsa_reserve_vcc 1
		.amdhsa_float_round_mode_32 0
		.amdhsa_float_round_mode_16_64 0
		.amdhsa_float_denorm_mode_32 3
		.amdhsa_float_denorm_mode_16_64 3
		.amdhsa_dx10_clamp 1
		.amdhsa_ieee_mode 1
		.amdhsa_fp16_overflow 0
		.amdhsa_workgroup_processor_mode 1
		.amdhsa_memory_ordered 1
		.amdhsa_forward_progress 0
		.amdhsa_shared_vgpr_count 0
		.amdhsa_exception_fp_ieee_invalid_op 0
		.amdhsa_exception_fp_denorm_src 0
		.amdhsa_exception_fp_ieee_div_zero 0
		.amdhsa_exception_fp_ieee_overflow 0
		.amdhsa_exception_fp_ieee_underflow 0
		.amdhsa_exception_fp_ieee_inexact 0
		.amdhsa_exception_int_div_zero 0
	.end_amdhsa_kernel
	.text
.Lfunc_end12:
	.size	_Z13kernel_filterfiPKiPKlPKtS4_S2_S0_PiS4_i, .Lfunc_end12-_Z13kernel_filterfiPKiPKlPKtS4_S2_S0_PiS4_i
                                        ; -- End function
	.section	.AMDGPU.csdata,"",@progbits
; Kernel info:
; codeLenInByte = 1560
; NumSgprs: 24
; NumVgprs: 10
; ScratchSize: 0
; MemoryBound: 0
; FloatMode: 240
; IeeeMode: 1
; LDSByteSize: 512 bytes/workgroup (compile time only)
; SGPRBlocks: 2
; VGPRBlocks: 1
; NumSGPRsForWavesPerEU: 24
; NumVGPRsForWavesPerEU: 10
; Occupancy: 16
; WaveLimiterHint : 1
; COMPUTE_PGM_RSRC2:SCRATCH_EN: 0
; COMPUTE_PGM_RSRC2:USER_SGPR: 15
; COMPUTE_PGM_RSRC2:TRAP_HANDLER: 0
; COMPUTE_PGM_RSRC2:TGID_X_EN: 1
; COMPUTE_PGM_RSRC2:TGID_Y_EN: 0
; COMPUTE_PGM_RSRC2:TGID_Z_EN: 0
; COMPUTE_PGM_RSRC2:TIDIG_COMP_CNT: 0
	.text
	.protected	_Z12kernel_alignfPKiPKlPKjS0_iPii ; -- Begin function _Z12kernel_alignfPKiPKlPKjS0_iPii
	.globl	_Z12kernel_alignfPKiPKlPKjS0_iPii
	.p2align	8
	.type	_Z12kernel_alignfPKiPKlPKjS0_iPii,@function
_Z12kernel_alignfPKiPKlPKjS0_iPii:      ; @_Z12kernel_alignfPKiPKlPKjS0_iPii
; %bb.0:
	s_clause 0x1
	s_load_b32 s2, s[0:1], 0x4c
	s_load_b32 s3, s[0:1], 0x38
	s_waitcnt lgkmcnt(0)
	s_and_b32 s2, s2, 0xffff
	s_delay_alu instid0(SALU_CYCLE_1) | instskip(SKIP_1) | instid1(VALU_DEP_1)
	v_mad_u64_u32 v[1:2], null, s15, s2, v[0:1]
	s_mov_b32 s2, exec_lo
	v_cmpx_gt_i32_e64 s3, v1
	s_cbranch_execz .LBB13_48
; %bb.1:
	s_load_b64 s[2:3], s[0:1], 0x30
	v_ashrrev_i32_e32 v2, 31, v1
	s_delay_alu instid0(VALU_DEP_1) | instskip(SKIP_1) | instid1(VALU_DEP_1)
	v_lshlrev_b64 v[3:4], 2, v[1:2]
	s_waitcnt lgkmcnt(0)
	v_add_co_u32 v32, vcc_lo, s2, v3
	s_delay_alu instid0(VALU_DEP_2)
	v_add_co_ci_u32_e32 v33, vcc_lo, s3, v4, vcc_lo
	global_load_b32 v0, v[32:33], off
	s_waitcnt vmcnt(0)
	v_cmp_eq_u32_e32 vcc_lo, -3, v0
	s_and_b32 exec_lo, exec_lo, vcc_lo
	s_cbranch_execz .LBB13_48
; %bb.2:
	s_load_b256 s[4:11], s[0:1], 0x8
	v_lshlrev_b64 v[0:1], 3, v[1:2]
	s_load_b32 s2, s[0:1], 0x28
	s_waitcnt lgkmcnt(0)
	v_add_co_u32 v5, vcc_lo, s10, v3
	v_add_co_ci_u32_e32 v6, vcc_lo, s11, v4, vcc_lo
	s_delay_alu instid0(VALU_DEP_3)
	v_add_co_u32 v0, vcc_lo, s6, v0
	v_add_co_ci_u32_e32 v1, vcc_lo, s7, v1, vcc_lo
	v_add_co_u32 v7, vcc_lo, s4, v3
	v_add_co_ci_u32_e32 v8, vcc_lo, s5, v4, vcc_lo
	global_load_b32 v3, v[5:6], off
	global_load_b64 v[0:1], v[0:1], off
	global_load_b32 v2, v[7:8], off
	s_ashr_i32 s3, s2, 31
	v_dual_mov_b32 v4, 16 :: v_dual_mov_b32 v5, 0
	s_lshl_b64 s[12:13], s[2:3], 2
	s_delay_alu instid0(SALU_CYCLE_1) | instskip(SKIP_4) | instid1(SALU_CYCLE_1)
	s_add_u32 s4, s4, s12
	s_addc_u32 s5, s5, s13
	s_add_u32 s10, s10, s12
	s_addc_u32 s11, s11, s13
	s_lshl_b64 s[12:13], s[2:3], 3
	s_add_u32 s6, s6, s12
	s_addc_u32 s7, s7, s13
	s_load_b32 s3, s[10:11], 0x0
	s_load_b64 s[10:11], s[6:7], 0x0
	s_load_b32 s12, s[4:5], 0x0
	s_mov_b64 s[4:5], 0
.LBB13_3:                               ; =>This Inner Loop Header: Depth=1
	s_delay_alu instid0(SALU_CYCLE_1) | instskip(SKIP_4) | instid1(VALU_DEP_2)
	s_add_u32 s4, s4, 1
	s_addc_u32 s5, s5, 0
	scratch_store_b8 v4, v5, off
	v_cmp_gt_u64_e64 s6, 0x1770, s[4:5]
	v_add_nc_u32_e32 v4, 1, v4
	s_and_b32 vcc_lo, exec_lo, s6
	s_cbranch_vccnz .LBB13_3
; %bb.4:
	v_dual_mov_b32 v4, 0x1780 :: v_dual_mov_b32 v5, 0
	s_mov_b64 s[4:5], 0
.LBB13_5:                               ; =>This Inner Loop Header: Depth=1
	s_delay_alu instid0(SALU_CYCLE_1) | instskip(SKIP_4) | instid1(VALU_DEP_2)
	s_add_u32 s4, s4, 1
	s_addc_u32 s5, s5, 0
	scratch_store_b8 v4, v5, off
	v_cmp_gt_u64_e64 s6, 0x1770, s[4:5]
	v_add_nc_u32_e32 v4, 1, v4
	s_and_b32 vcc_lo, exec_lo, s6
	s_cbranch_vccnz .LBB13_5
; %bb.6:
	s_waitcnt vmcnt(0)
	v_sub_nc_u32_e32 v3, v2, v3
	s_mov_b32 s4, 0
	s_delay_alu instid0(SALU_CYCLE_1)
	s_mov_b32 s5, s4
	s_mov_b32 s6, s4
	;; [unrolled: 1-line block ×3, first 2 shown]
	v_mov_b32_e32 v36, 0
	v_dual_mov_b32 v4, s4 :: v_dual_mov_b32 v7, s7
	v_cmp_lt_i32_e32 vcc_lo, -16, v3
	v_dual_mov_b32 v5, s5 :: v_dual_mov_b32 v6, s6
	s_movk_i32 s5, 0x2ef0
	s_clause 0x3
	scratch_store_b32 off, v36, s5 offset:144
	scratch_store_b128 off, v[4:7], s5 offset:128
	scratch_store_b128 off, v[4:7], s5 offset:112
	;; [unrolled: 1-line block ×3, first 2 shown]
	s_and_b32 exec_lo, exec_lo, vcc_lo
	s_cbranch_execz .LBB13_48
; %bb.7:
	s_load_b32 s0, s[0:1], 0x0
	v_ashrrev_i32_e32 v4, 31, v3
	v_ashrrev_i32_e32 v5, 31, v1
	v_cvt_f32_i32_e32 v2, v2
	s_waitcnt lgkmcnt(0)
	s_sub_i32 s1, s12, s3
	s_ashr_i32 s3, s11, 31
	v_lshrrev_b32_e32 v4, 28, v4
	v_lshrrev_b32_e32 v5, 28, v5
	s_lshr_b32 s3, s3, 28
	v_mov_b32_e32 v43, 0
	s_add_u32 s3, s10, s3
	v_add_nc_u32_e32 v4, v3, v4
	s_addc_u32 s5, s11, 0
	v_add_co_u32 v0, vcc_lo, v0, v5
	s_ashr_i32 s6, s1, 31
	s_delay_alu instid0(VALU_DEP_2) | instskip(SKIP_3) | instid1(VALU_DEP_3)
	v_and_b32_e32 v6, 0x3ffffff0, v4
	v_alignbit_b32 v7, s5, s3, 4
	v_add_co_ci_u32_e32 v1, vcc_lo, 0, v1, vcc_lo
	s_lshr_b32 s6, s6, 28
	v_sub_nc_u32_e32 v3, v3, v6
	v_mul_f32_e32 v2, s0, v2
	s_add_i32 s3, s1, s6
	v_readfirstlane_b32 s5, v7
	s_ashr_i32 s3, s3, 4
	v_lshlrev_b32_e32 v3, 2, v3
	v_ceil_f32_e32 v2, v2
	v_ashrrev_i32_e32 v37, 4, v4
	v_alignbit_b32 v38, v1, v0, 4
	v_mov_b32_e32 v42, 0
	v_add_nc_u32_e32 v40, 0x2ef0, v3
	v_cvt_i32_f32_e32 v39, v2
	v_add_nc_u32_e32 v41, 0x2f40, v3
	s_cmp_gt_i32 s1, -16
	s_cselect_b32 s6, -1, 0
	s_branch .LBB13_11
.LBB13_8:                               ;   in Loop: Header=BB13_11 Depth=1
	s_or_b32 exec_lo, exec_lo, s12
.LBB13_9:                               ;   in Loop: Header=BB13_11 Depth=1
	v_cmp_ne_u32_e32 vcc_lo, 23, v61
	v_cndmask_b32_e32 v63, 0, v61, vcc_lo
.LBB13_10:                              ;   in Loop: Header=BB13_11 Depth=1
	s_or_b32 exec_lo, exec_lo, s7
	s_delay_alu instid0(VALU_DEP_1) | instskip(SKIP_2) | instid1(VALU_DEP_2)
	v_cmp_ne_u32_e32 vcc_lo, 0, v63
	v_cmp_ge_i32_e64 s0, v42, v37
	v_add_nc_u32_e32 v42, 1, v42
	s_or_b32 s0, vcc_lo, s0
	s_delay_alu instid0(SALU_CYCLE_1) | instskip(NEXT) | instid1(SALU_CYCLE_1)
	s_and_b32 s0, exec_lo, s0
	s_or_b32 s4, s0, s4
	s_delay_alu instid0(SALU_CYCLE_1)
	s_and_not1_b32 exec_lo, exec_lo, s4
	s_cbranch_execz .LBB13_47
.LBB13_11:                              ; =>This Loop Header: Depth=1
                                        ;     Child Loop BB13_14 Depth 2
                                        ;       Child Loop BB13_16 Depth 3
                                        ;     Child Loop BB13_33 Depth 2
                                        ;       Child Loop BB13_35 Depth 3
	s_mov_b32 s12, 0
	s_movk_i32 s0, 0x2ef0
	s_mov_b32 s13, s12
	s_mov_b32 s14, s12
	;; [unrolled: 1-line block ×3, first 2 shown]
	v_add_nc_u32_e32 v4, v42, v38
	v_mov_b32_e32 v16, 0
	v_dual_mov_b32 v0, s12 :: v_dual_mov_b32 v1, s13
	v_dual_mov_b32 v2, s14 :: v_dual_mov_b32 v63, 8
	s_delay_alu instid0(VALU_DEP_4)
	v_ashrrev_i32_e32 v5, 31, v4
	v_mov_b32_e32 v3, s15
	v_mov_b32_e32 v17, v16
	;; [unrolled: 1-line block ×3, first 2 shown]
	s_clause 0x1
	scratch_store_b128 off, v[0:3], s0 offset:80
	scratch_store_b96 off, v[16:18], s0 offset:96
	v_lshlrev_b64 v[4:5], 2, v[4:5]
	s_clause 0x3
	scratch_store_b128 off, v[0:3], s0
	scratch_store_b128 off, v[0:3], s0 offset:16
	scratch_store_b128 off, v[0:3], s0 offset:32
	;; [unrolled: 1-line block ×3, first 2 shown]
	v_add_co_u32 v34, vcc_lo, s8, v4
	v_add_co_ci_u32_e32 v35, vcc_lo, s9, v5, vcc_lo
	s_and_not1_b32 vcc_lo, exec_lo, s6
	s_cbranch_vccnz .LBB13_29
; %bb.12:                               ;   in Loop: Header=BB13_11 Depth=1
	global_load_b32 v44, v[34:35], off
	v_cmp_eq_u32_e32 vcc_lo, v42, v37
	v_dual_mov_b32 v30, 0 :: v_dual_mov_b32 v81, 0
	v_dual_mov_b32 v31, 0 :: v_dual_mov_b32 v28, 0
	;; [unrolled: 1-line block ×9, first 2 shown]
	s_mov_b32 s7, 0
	s_waitcnt vmcnt(0)
	v_lshrrev_b32_e32 v45, 30, v44
	v_lshrrev_b32_e32 v46, 28, v44
	;; [unrolled: 1-line block ×15, first 2 shown]
	s_branch .LBB13_14
.LBB13_13:                              ;   in Loop: Header=BB13_14 Depth=2
	s_or_b32 exec_lo, exec_lo, s11
	s_delay_alu instid0(SALU_CYCLE_1) | instskip(NEXT) | instid1(SALU_CYCLE_1)
	s_and_b32 s0, exec_lo, s10
	s_or_b32 s12, s0, s12
	s_delay_alu instid0(SALU_CYCLE_1)
	s_and_not1_b32 exec_lo, exec_lo, s12
	s_cbranch_execz .LBB13_28
.LBB13_14:                              ;   Parent Loop BB13_11 Depth=1
                                        ; =>  This Loop Header: Depth=2
                                        ;       Child Loop BB13_16 Depth 3
	s_add_i32 s10, s7, s5
	v_lshl_add_u32 v0, v60, 1, 0x1780
	s_ashr_i32 s11, s10, 31
	v_dual_mov_b32 v65, 30 :: v_dual_mov_b32 v66, v30
	s_lshl_b64 s[10:11], s[10:11], 2
	v_dual_mov_b32 v67, v81 :: v_dual_mov_b32 v68, v31
	s_add_u32 s10, s8, s10
	s_addc_u32 s11, s9, s11
	scratch_load_i16 v0, v0, off
	global_load_b32 v61, v36, s[10:11]
	v_dual_mov_b32 v69, v29 :: v_dual_mov_b32 v70, v28
	v_dual_mov_b32 v71, v27 :: v_dual_mov_b32 v72, v26
	;; [unrolled: 1-line block ×14, first 2 shown]
	v_mov_b32_e32 v82, v16
	v_mov_b32_e32 v62, v17
	s_mov_b32 s10, 0
	s_movk_i32 s0, 0x2ef0
	s_waitcnt vmcnt(1)
	scratch_store_b32 off, v0, s0
	s_branch .LBB13_16
.LBB13_15:                              ;   in Loop: Header=BB13_16 Depth=3
	s_or_b32 exec_lo, exec_lo, s13
	v_dual_mov_b32 v66, v30 :: v_dual_mov_b32 v67, v81
	v_dual_mov_b32 v68, v31 :: v_dual_mov_b32 v69, v29
	;; [unrolled: 1-line block ×7, first 2 shown]
	v_mov_b32_e32 v80, v20
	v_mov_b32_e32 v82, v16
	;; [unrolled: 1-line block ×3, first 2 shown]
	s_and_b32 s0, exec_lo, s0
	s_delay_alu instid0(SALU_CYCLE_1) | instskip(NEXT) | instid1(SALU_CYCLE_1)
	s_or_b32 s10, s0, s10
	s_and_not1_b32 exec_lo, exec_lo, s10
	s_cbranch_execz .LBB13_26
.LBB13_16:                              ;   Parent Loop BB13_11 Depth=1
                                        ;     Parent Loop BB13_14 Depth=2
                                        ; =>    This Inner Loop Header: Depth=3
	v_lshlrev_b32_e32 v63, 1, v60
	s_waitcnt vmcnt(0)
	v_lshrrev_b32_e32 v18, v65, v61
	v_bfe_u32 v17, v61, v65, 2
	s_movk_i32 s11, 0x2ef0
	s_mov_b32 s13, 0
	v_add_nc_u32_e32 v85, 0x1780, v63
	v_xor_b32_e32 v19, v46, v18
	v_cmp_eq_u32_e64 s0, v45, v17
	v_xor_b32_e32 v20, v47, v18
	v_xor_b32_e32 v21, v48, v18
	scratch_load_i16 v16, v85, off offset:2
	v_and_b32_e32 v19, 3, v19
	v_add_co_ci_u32_e64 v17, s0, 0, v0, s0
	v_xor_b32_e32 v22, v49, v18
	v_xor_b32_e32 v23, v50, v18
	s_delay_alu instid0(VALU_DEP_4)
	v_cmp_eq_u32_e64 s0, 0, v19
	v_xor_b32_e32 v25, v51, v18
	v_xor_b32_e32 v26, v52, v18
	;; [unrolled: 1-line block ×10, first 2 shown]
	v_and_b32_e32 v18, 3, v20
	v_add_co_ci_u32_e64 v19, s0, 0, v1, s0
	v_and_b32_e32 v20, 3, v21
	v_and_b32_e32 v22, 3, v22
	s_delay_alu instid0(VALU_DEP_4) | instskip(NEXT) | instid1(VALU_DEP_1)
	v_cmp_eq_u32_e64 s0, 0, v18
                                        ; implicit-def: $vgpr83
	v_add_co_ci_u32_e64 v21, s0, 0, v2, s0
	s_delay_alu instid0(VALU_DEP_4) | instskip(NEXT) | instid1(VALU_DEP_1)
	v_cmp_eq_u32_e64 s0, 0, v20
	v_add_co_ci_u32_e64 v20, s0, 0, v3, s0
	v_cmp_eq_u32_e64 s0, 0, v22
	s_delay_alu instid0(VALU_DEP_1) | instskip(SKIP_2) | instid1(VALU_DEP_1)
	v_add_co_ci_u32_e64 v22, s0, 0, v4, s0
	s_waitcnt vmcnt(0)
	v_max3_i32 v17, v17, v16, v1
	v_max3_i32 v18, v19, v17, v2
	s_delay_alu instid0(VALU_DEP_1)
	v_max3_i32 v19, v21, v18, v3
	v_and_b32_e32 v21, 3, v23
	v_and_b32_e32 v23, 3, v28
	;; [unrolled: 1-line block ×4, first 2 shown]
	v_max3_i32 v24, v20, v19, v4
	v_cmp_eq_u32_e64 s0, 0, v21
	v_and_b32_e32 v20, 3, v25
	v_and_b32_e32 v31, 3, v64
	;; [unrolled: 1-line block ×3, first 2 shown]
	v_max3_i32 v25, v22, v24, v5
	v_add_co_ci_u32_e64 v21, s0, 0, v5, s0
	v_cmp_eq_u32_e64 s0, 0, v20
	v_and_b32_e32 v22, 3, v26
	v_add_nc_u32_e32 v81, 16, v63
	s_delay_alu instid0(VALU_DEP_4) | instskip(SKIP_3) | instid1(VALU_DEP_2)
	v_max3_i32 v26, v21, v25, v6
	v_and_b32_e32 v21, 3, v27
	v_add_co_ci_u32_e64 v20, s0, 0, v6, s0
	v_cmp_eq_u32_e64 s0, 0, v22
                                        ; implicit-def: $vgpr63
	v_max3_i32 v27, v20, v26, v7
	s_delay_alu instid0(VALU_DEP_2) | instskip(SKIP_1) | instid1(VALU_DEP_2)
	v_add_co_ci_u32_e64 v22, s0, 0, v7, s0
	v_cmp_eq_u32_e64 s0, 0, v21
	v_max3_i32 v20, v22, v27, v8
	v_and_b32_e32 v22, 3, v29
	s_delay_alu instid0(VALU_DEP_3) | instskip(SKIP_1) | instid1(VALU_DEP_2)
	v_add_co_ci_u32_e64 v21, s0, 0, v8, s0
	v_cmp_eq_u32_e64 s0, 0, v23
	v_max3_i32 v21, v21, v20, v9
	s_delay_alu instid0(VALU_DEP_2) | instskip(SKIP_1) | instid1(VALU_DEP_2)
	v_add_co_ci_u32_e64 v23, s0, 0, v9, s0
	v_cmp_eq_u32_e64 s0, 0, v22
	v_max3_i32 v22, v23, v21, v10
	s_delay_alu instid0(VALU_DEP_2) | instskip(SKIP_1) | instid1(VALU_DEP_2)
	v_add_co_ci_u32_e64 v29, s0, 0, v10, s0
	v_cmp_eq_u32_e64 s0, 0, v28
	v_max3_i32 v23, v29, v22, v11
	v_and_b32_e32 v29, 3, v43
	s_delay_alu instid0(VALU_DEP_3) | instskip(SKIP_1) | instid1(VALU_DEP_2)
	v_add_co_ci_u32_e64 v28, s0, 0, v11, s0
	v_cmp_eq_u32_e64 s0, 0, v30
	v_max3_i32 v28, v28, v23, v12
	s_delay_alu instid0(VALU_DEP_2) | instskip(SKIP_1) | instid1(VALU_DEP_2)
	v_add_co_ci_u32_e64 v30, s0, 0, v12, s0
	v_cmp_eq_u32_e64 s0, 0, v29
	v_max3_i32 v29, v30, v28, v13
	s_delay_alu instid0(VALU_DEP_2) | instskip(SKIP_1) | instid1(VALU_DEP_2)
	v_add_co_ci_u32_e64 v43, s0, 0, v13, s0
	v_cmp_eq_u32_e64 s0, 0, v31
	v_max3_i32 v30, v43, v29, v14
	s_delay_alu instid0(VALU_DEP_2) | instskip(SKIP_2) | instid1(VALU_DEP_3)
	v_add_co_ci_u32_e64 v31, s0, 0, v14, s0
	v_cmp_eq_u32_e64 s0, 0, v64
	v_add_nc_u32_e32 v64, 1, v60
	v_max3_i32 v31, v31, v30, v15
	s_delay_alu instid0(VALU_DEP_3)
	v_add_co_ci_u32_e64 v43, s0, 0, v15, s0
	s_movk_i32 s0, 0x2ef0
	s_clause 0x1
	scratch_store_b128 off, v[16:19], s0 offset:80
	scratch_store_b128 off, v[24:27], s0 offset:96
	v_max3_i32 v43, v43, v31, v62
	v_cmp_ne_u32_e64 s0, s1, v64
	s_clause 0x1
	scratch_store_b128 off, v[20:23], s11 offset:112
	scratch_store_b128 off, v[28:31], s11 offset:128
                                        ; implicit-def: $sgpr11
                                        ; implicit-def: $vgpr64
	scratch_store_b16 v81, v43, off offset:2
	s_and_saveexec_b32 s14, s0
	s_delay_alu instid0(SALU_CYCLE_1)
	s_xor_b32 s14, exec_lo, s14
	s_cbranch_execz .LBB13_20
; %bb.17:                               ;   in Loop: Header=BB13_16 Depth=3
	scratch_load_i16 v0, v85, off offset:4
	v_dual_mov_b32 v63, 0 :: v_dual_add_nc_u32 v64, -2, v65
	v_add_nc_u32_e32 v60, 2, v60
	s_movk_i32 s11, 0x2ef0
	s_delay_alu instid0(VALU_DEP_2) | instskip(SKIP_1) | instid1(VALU_DEP_2)
	v_lshrrev_b32_e32 v2, v64, v61
	v_bfe_u32 v1, v61, v64, 2
	v_xor_b32_e32 v3, v46, v2
	s_delay_alu instid0(VALU_DEP_2)
	v_cmp_eq_u32_e64 s0, v45, v1
	v_xor_b32_e32 v4, v47, v2
	v_xor_b32_e32 v5, v48, v2
	;; [unrolled: 1-line block ×3, first 2 shown]
	v_and_b32_e32 v3, 3, v3
	v_add_co_ci_u32_e64 v1, s0, 0, v16, s0
	v_xor_b32_e32 v7, v50, v2
	v_xor_b32_e32 v8, v51, v2
	s_delay_alu instid0(VALU_DEP_4)
	v_cmp_eq_u32_e64 s0, 0, v3
	v_xor_b32_e32 v9, v52, v2
	v_xor_b32_e32 v10, v53, v2
	;; [unrolled: 1-line block ×9, first 2 shown]
	v_and_b32_e32 v2, 3, v4
	v_add_co_ci_u32_e64 v3, s0, 0, v17, s0
	v_and_b32_e32 v4, 3, v5
	v_and_b32_e32 v6, 3, v6
	s_delay_alu instid0(VALU_DEP_4) | instskip(SKIP_3) | instid1(VALU_DEP_4)
	v_cmp_eq_u32_e64 s0, 0, v2
	v_and_b32_e32 v9, 3, v9
	v_and_b32_e32 v12, 3, v12
	;; [unrolled: 1-line block ×3, first 2 shown]
	v_add_co_ci_u32_e64 v5, s0, 0, v18, s0
	v_cmp_eq_u32_e64 s0, 0, v4
	s_delay_alu instid0(VALU_DEP_1) | instskip(SKIP_1) | instid1(VALU_DEP_1)
	v_add_co_ci_u32_e64 v4, s0, 0, v19, s0
	v_cmp_eq_u32_e64 s0, 0, v6
	v_add_co_ci_u32_e64 v6, s0, 0, v24, s0
	s_waitcnt vmcnt(0)
	v_max3_i32 v1, v1, v0, v17
	s_delay_alu instid0(VALU_DEP_1) | instskip(NEXT) | instid1(VALU_DEP_1)
	v_max3_i32 v2, v3, v1, v18
	v_max3_i32 v3, v5, v2, v19
	v_and_b32_e32 v5, 3, v7
	v_and_b32_e32 v7, 3, v8
	s_delay_alu instid0(VALU_DEP_3) | instskip(NEXT) | instid1(VALU_DEP_3)
	v_max3_i32 v4, v4, v3, v24
	v_cmp_eq_u32_e64 s0, 0, v5
	s_delay_alu instid0(VALU_DEP_2) | instskip(NEXT) | instid1(VALU_DEP_2)
	v_max3_i32 v5, v6, v4, v25
	v_add_co_ci_u32_e64 v8, s0, 0, v25, s0
	v_cmp_eq_u32_e64 s0, 0, v7
	s_delay_alu instid0(VALU_DEP_2) | instskip(SKIP_1) | instid1(VALU_DEP_3)
	v_max3_i32 v6, v8, v5, v26
	v_and_b32_e32 v8, 3, v10
	v_add_co_ci_u32_e64 v7, s0, 0, v26, s0
	v_cmp_eq_u32_e64 s0, 0, v9
	v_and_b32_e32 v10, 3, v11
	s_delay_alu instid0(VALU_DEP_3) | instskip(NEXT) | instid1(VALU_DEP_3)
	v_max3_i32 v7, v7, v6, v27
	v_add_co_ci_u32_e64 v9, s0, 0, v27, s0
	v_cmp_eq_u32_e64 s0, 0, v8
	s_delay_alu instid0(VALU_DEP_2) | instskip(NEXT) | instid1(VALU_DEP_2)
	v_max3_i32 v8, v9, v7, v20
	v_add_co_ci_u32_e64 v11, s0, 0, v20, s0
	v_cmp_eq_u32_e64 s0, 0, v10
	s_delay_alu instid0(VALU_DEP_2) | instskip(SKIP_1) | instid1(VALU_DEP_3)
	v_max3_i32 v9, v11, v8, v21
	v_and_b32_e32 v11, 3, v13
	v_add_co_ci_u32_e64 v10, s0, 0, v21, s0
	v_cmp_eq_u32_e64 s0, 0, v12
	v_and_b32_e32 v13, 3, v14
	s_delay_alu instid0(VALU_DEP_3) | instskip(NEXT) | instid1(VALU_DEP_3)
	v_max3_i32 v10, v10, v9, v22
	v_add_co_ci_u32_e64 v12, s0, 0, v22, s0
	;; [unrolled: 14-line block ×3, first 2 shown]
	v_cmp_eq_u32_e64 s0, 0, v14
	s_delay_alu instid0(VALU_DEP_2) | instskip(NEXT) | instid1(VALU_DEP_2)
	v_max3_i32 v14, v15, v13, v30
	v_add_co_ci_u32_e64 v17, s0, 0, v30, s0
	v_cmp_eq_u32_e64 s0, 0, v16
	s_delay_alu instid0(VALU_DEP_2) | instskip(NEXT) | instid1(VALU_DEP_2)
	v_max3_i32 v15, v17, v14, v31
	v_add_co_ci_u32_e64 v16, s0, 0, v31, s0
	s_movk_i32 s0, 0x2ef0
	s_clause 0x1
	scratch_store_b128 off, v[0:3], s0
	scratch_store_b128 off, v[4:7], s0 offset:16
	v_max3_i32 v62, v16, v15, v43
	v_cmp_eq_u32_e64 s0, s1, v60
	s_clause 0x1
	scratch_store_b128 off, v[8:11], s11 offset:32
	scratch_store_b128 off, v[12:15], s11 offset:48
	s_mov_b32 s11, -1
	scratch_store_b16 v81, v62, off offset:4
	s_and_saveexec_b32 s15, s0
	s_delay_alu instid0(SALU_CYCLE_1)
	s_xor_b32 s0, exec_lo, s15
; %bb.18:                               ;   in Loop: Header=BB13_16 Depth=3
	v_dual_mov_b32 v63, 11 :: v_dual_mov_b32 v60, s1
	s_xor_b32 s11, exec_lo, -1
	s_and_b32 s13, vcc_lo, exec_lo
; %bb.19:                               ;   in Loop: Header=BB13_16 Depth=3
	s_or_b32 exec_lo, exec_lo, s0
	v_mov_b32_e32 v83, v40
	s_and_b32 s11, s11, exec_lo
	s_and_b32 s13, s13, exec_lo
                                        ; implicit-def: $vgpr66
                                        ; implicit-def: $vgpr67
                                        ; implicit-def: $vgpr68
                                        ; implicit-def: $vgpr69
                                        ; implicit-def: $vgpr70
                                        ; implicit-def: $vgpr71
                                        ; implicit-def: $vgpr72
                                        ; implicit-def: $vgpr73
                                        ; implicit-def: $vgpr74
                                        ; implicit-def: $vgpr75
                                        ; implicit-def: $vgpr76
                                        ; implicit-def: $vgpr77
                                        ; implicit-def: $vgpr78
                                        ; implicit-def: $vgpr79
                                        ; implicit-def: $vgpr80
                                        ; implicit-def: $vgpr82
                                        ; implicit-def: $vgpr84
                                        ; implicit-def: $vgpr65
.LBB13_20:                              ;   in Loop: Header=BB13_16 Depth=3
	s_or_saveexec_b32 s0, s14
	v_dual_mov_b32 v17, v62 :: v_dual_mov_b32 v86, v1
	v_dual_mov_b32 v85, v62 :: v_dual_mov_b32 v88, v3
	;; [unrolled: 1-line block ×16, first 2 shown]
	v_mov_b32_e32 v81, v14
	s_xor_b32 exec_lo, exec_lo, s0
	s_cbranch_execz .LBB13_22
; %bb.21:                               ;   in Loop: Header=BB13_16 Depth=3
	v_dual_mov_b32 v63, 11 :: v_dual_mov_b32 v60, s1
	v_dual_mov_b32 v64, v65 :: v_dual_mov_b32 v17, v84
	;; [unrolled: 1-line block ×18, first 2 shown]
	v_mov_b32_e32 v81, v67
	s_and_not1_b32 s13, s13, exec_lo
	s_and_b32 s14, vcc_lo, exec_lo
	s_and_not1_b32 s11, s11, exec_lo
	s_or_b32 s13, s13, s14
	s_or_b32 exec_lo, exec_lo, s0
	s_and_saveexec_b32 s14, s13
	s_cbranch_execz .LBB13_24
	s_branch .LBB13_23
.LBB13_22:                              ;   in Loop: Header=BB13_16 Depth=3
	s_or_b32 exec_lo, exec_lo, s0
	s_and_saveexec_b32 s14, s13
	s_cbranch_execz .LBB13_24
.LBB13_23:                              ;   in Loop: Header=BB13_16 Depth=3
	scratch_load_b32 v16, v83, off
	v_dual_mov_b32 v60, s1 :: v_dual_mov_b32 v63, 1
	v_dual_mov_b32 v30, v100 :: v_dual_mov_b32 v81, v99
	;; [unrolled: 1-line block ×8, first 2 shown]
	v_mov_b32_e32 v19, v88
	s_and_not1_b32 s11, s11, exec_lo
	s_waitcnt vmcnt(0)
	v_cmp_ge_i32_e64 s0, v16, v39
	v_mov_b32_e32 v16, v85
	s_delay_alu instid0(VALU_DEP_2)
	v_cndmask_b32_e64 v65, -1, s2, s0
	global_store_b32 v[32:33], v65, off
.LBB13_24:                              ;   in Loop: Header=BB13_16 Depth=3
	s_or_b32 exec_lo, exec_lo, s14
	s_mov_b32 s0, -1
                                        ; implicit-def: $vgpr65
	s_and_saveexec_b32 s13, s11
	s_cbranch_execz .LBB13_15
; %bb.25:                               ;   in Loop: Header=BB13_16 Depth=3
	v_cmp_gt_i32_e64 s0, 2, v64
	v_add_nc_u32_e32 v65, -2, v64
	v_mov_b32_e32 v63, 11
	s_delay_alu instid0(VALU_DEP_3)
	s_or_not1_b32 s0, s0, exec_lo
	s_branch .LBB13_15
.LBB13_26:                              ;   in Loop: Header=BB13_14 Depth=2
	s_or_b32 exec_lo, exec_lo, s10
	s_mov_b32 s10, -1
	s_mov_b32 s11, exec_lo
	v_cmpx_eq_u32_e32 11, v63
	s_cbranch_execz .LBB13_13
; %bb.27:                               ;   in Loop: Header=BB13_14 Depth=2
	s_add_i32 s0, s7, 1
	s_cmp_eq_u32 s7, s3
	v_mov_b32_e32 v63, 8
	s_cselect_b32 s7, -1, 0
	s_delay_alu instid0(SALU_CYCLE_1)
	s_or_not1_b32 s10, s7, exec_lo
	s_mov_b32 s7, s0
	s_branch .LBB13_13
.LBB13_28:                              ;   in Loop: Header=BB13_11 Depth=1
	s_or_b32 exec_lo, exec_lo, s12
.LBB13_29:                              ;   in Loop: Header=BB13_11 Depth=1
	s_delay_alu instid0(SALU_CYCLE_1)
	s_mov_b32 s7, exec_lo
	v_cmpx_eq_u32_e32 8, v63
	s_cbranch_execz .LBB13_10
; %bb.30:                               ;   in Loop: Header=BB13_11 Depth=1
	s_mov_b32 s12, 0
	v_dual_mov_b32 v61, 23 :: v_dual_add_nc_u32 v42, 1, v42
	s_mov_b32 s13, s12
	s_mov_b32 s14, s12
	;; [unrolled: 1-line block ×3, first 2 shown]
	v_dual_mov_b32 v0, s12 :: v_dual_mov_b32 v1, s13
	v_dual_mov_b32 v2, s14 :: v_dual_mov_b32 v3, s15
	;; [unrolled: 1-line block ×3, first 2 shown]
	s_movk_i32 s0, 0x2ef0
	s_and_not1_b32 vcc_lo, exec_lo, s6
	s_clause 0x7
	scratch_store_b128 off, v[0:3], s0
	scratch_store_b128 off, v[0:3], s0 offset:16
	scratch_store_b128 off, v[0:3], s0 offset:80
	;; [unrolled: 1-line block ×7, first 2 shown]
	s_cbranch_vccnz .LBB13_9
; %bb.31:                               ;   in Loop: Header=BB13_11 Depth=1
	global_load_b32 v34, v[34:35], off offset:4
	v_cmp_eq_u32_e32 vcc_lo, v42, v37
	v_dual_mov_b32 v31, 0 :: v_dual_mov_b32 v80, 0
	v_dual_mov_b32 v81, 0 :: v_dual_mov_b32 v30, 0
	;; [unrolled: 1-line block ×9, first 2 shown]
	v_mov_b32_e32 v58, 0
	s_mov_b32 s10, 0
	s_waitcnt vmcnt(0)
	v_lshrrev_b32_e32 v35, 30, v34
	v_lshrrev_b32_e32 v44, 28, v34
	;; [unrolled: 1-line block ×15, first 2 shown]
	s_branch .LBB13_33
.LBB13_32:                              ;   in Loop: Header=BB13_33 Depth=2
	s_or_b32 exec_lo, exec_lo, s13
	s_delay_alu instid0(SALU_CYCLE_1) | instskip(NEXT) | instid1(SALU_CYCLE_1)
	s_and_b32 s0, exec_lo, s11
	s_or_b32 s12, s0, s12
	s_delay_alu instid0(SALU_CYCLE_1)
	s_and_not1_b32 exec_lo, exec_lo, s12
	s_cbranch_execz .LBB13_8
.LBB13_33:                              ;   Parent Loop BB13_11 Depth=1
                                        ; =>  This Loop Header: Depth=2
                                        ;       Child Loop BB13_35 Depth 3
	s_add_i32 s14, s10, s5
	v_dual_mov_b32 v63, 30 :: v_dual_mov_b32 v64, v31
	s_ashr_i32 s15, s14, 31
	v_dual_mov_b32 v65, v81 :: v_dual_mov_b32 v66, v80
	s_lshl_b64 s[14:15], s[14:15], 2
	v_dual_mov_b32 v67, v30 :: v_dual_mov_b32 v68, v29
	s_add_u32 s14, s8, s14
	s_addc_u32 s15, s9, s15
	v_dual_mov_b32 v69, v28 :: v_dual_mov_b32 v70, v27
	global_load_b32 v59, v36, s[14:15]
	v_dual_mov_b32 v71, v26 :: v_dual_mov_b32 v72, v25
	v_dual_mov_b32 v73, v24 :: v_dual_mov_b32 v74, v23
	;; [unrolled: 1-line block ×14, first 2 shown]
	s_mov_b32 s11, 0
	s_branch .LBB13_35
.LBB13_34:                              ;   in Loop: Header=BB13_35 Depth=3
	s_or_b32 exec_lo, exec_lo, s14
	v_dual_mov_b32 v64, v31 :: v_dual_mov_b32 v65, v81
	v_dual_mov_b32 v66, v80 :: v_dual_mov_b32 v67, v30
	;; [unrolled: 1-line block ×9, first 2 shown]
	s_and_b32 s0, exec_lo, s0
	s_delay_alu instid0(SALU_CYCLE_1) | instskip(NEXT) | instid1(SALU_CYCLE_1)
	s_or_b32 s11, s0, s11
	s_and_not1_b32 exec_lo, exec_lo, s11
	s_cbranch_execz .LBB13_45
.LBB13_35:                              ;   Parent Loop BB13_11 Depth=1
                                        ;     Parent Loop BB13_33 Depth=2
                                        ; =>    This Inner Loop Header: Depth=3
	v_lshlrev_b32_e32 v61, 1, v58
	s_waitcnt vmcnt(0)
	v_lshrrev_b32_e32 v18, v63, v59
	v_bfe_u32 v17, v59, v63, 2
	s_movk_i32 s13, 0x2ef0
	s_mov_b32 s14, 0
	v_add_nc_u32_e32 v81, 16, v61
	v_xor_b32_e32 v19, v44, v18
	v_cmp_eq_u32_e64 s0, v35, v17
	v_xor_b32_e32 v20, v45, v18
	v_xor_b32_e32 v21, v46, v18
	scratch_load_i16 v16, v81, off offset:2
	v_and_b32_e32 v19, 3, v19
	v_add_co_ci_u32_e64 v17, s0, 0, v0, s0
	v_xor_b32_e32 v22, v47, v18
	v_xor_b32_e32 v23, v48, v18
	s_delay_alu instid0(VALU_DEP_4)
	v_cmp_eq_u32_e64 s0, 0, v19
	v_xor_b32_e32 v25, v49, v18
	v_xor_b32_e32 v26, v50, v18
	;; [unrolled: 1-line block ×10, first 2 shown]
	v_and_b32_e32 v18, 3, v20
	v_add_co_ci_u32_e64 v19, s0, 0, v1, s0
	v_and_b32_e32 v20, 3, v21
	v_and_b32_e32 v22, 3, v22
	s_delay_alu instid0(VALU_DEP_4) | instskip(NEXT) | instid1(VALU_DEP_1)
	v_cmp_eq_u32_e64 s0, 0, v18
                                        ; implicit-def: $vgpr82
	v_add_co_ci_u32_e64 v21, s0, 0, v2, s0
	s_delay_alu instid0(VALU_DEP_4) | instskip(NEXT) | instid1(VALU_DEP_1)
	v_cmp_eq_u32_e64 s0, 0, v20
	v_add_co_ci_u32_e64 v20, s0, 0, v3, s0
	v_cmp_eq_u32_e64 s0, 0, v22
	s_delay_alu instid0(VALU_DEP_1) | instskip(SKIP_2) | instid1(VALU_DEP_1)
	v_add_co_ci_u32_e64 v22, s0, 0, v4, s0
	s_waitcnt vmcnt(0)
	v_max3_i32 v17, v17, v16, v1
	v_max3_i32 v18, v19, v17, v2
	s_delay_alu instid0(VALU_DEP_1)
	v_max3_i32 v19, v21, v18, v3
	v_and_b32_e32 v21, 3, v23
	v_and_b32_e32 v23, 3, v28
	;; [unrolled: 1-line block ×4, first 2 shown]
	v_max3_i32 v24, v20, v19, v4
	v_cmp_eq_u32_e64 s0, 0, v21
	v_and_b32_e32 v20, 3, v25
	v_and_b32_e32 v31, 3, v62
	;; [unrolled: 1-line block ×3, first 2 shown]
	v_max3_i32 v25, v22, v24, v5
	v_add_co_ci_u32_e64 v21, s0, 0, v5, s0
	v_cmp_eq_u32_e64 s0, 0, v20
	v_and_b32_e32 v22, 3, v26
	v_add_nc_u32_e32 v80, 0x1780, v61
	s_delay_alu instid0(VALU_DEP_4) | instskip(SKIP_3) | instid1(VALU_DEP_2)
	v_max3_i32 v26, v21, v25, v6
	v_and_b32_e32 v21, 3, v27
	v_add_co_ci_u32_e64 v20, s0, 0, v6, s0
	v_cmp_eq_u32_e64 s0, 0, v22
                                        ; implicit-def: $vgpr61
	v_max3_i32 v27, v20, v26, v7
	s_delay_alu instid0(VALU_DEP_2) | instskip(SKIP_1) | instid1(VALU_DEP_2)
	v_add_co_ci_u32_e64 v22, s0, 0, v7, s0
	v_cmp_eq_u32_e64 s0, 0, v21
	v_max3_i32 v20, v22, v27, v8
	v_and_b32_e32 v22, 3, v29
	s_delay_alu instid0(VALU_DEP_3) | instskip(SKIP_1) | instid1(VALU_DEP_2)
	v_add_co_ci_u32_e64 v21, s0, 0, v8, s0
	v_cmp_eq_u32_e64 s0, 0, v23
	v_max3_i32 v21, v21, v20, v9
	s_delay_alu instid0(VALU_DEP_2) | instskip(SKIP_1) | instid1(VALU_DEP_2)
	v_add_co_ci_u32_e64 v23, s0, 0, v9, s0
	v_cmp_eq_u32_e64 s0, 0, v22
	v_max3_i32 v22, v23, v21, v10
	s_delay_alu instid0(VALU_DEP_2) | instskip(SKIP_1) | instid1(VALU_DEP_2)
	v_add_co_ci_u32_e64 v29, s0, 0, v10, s0
	v_cmp_eq_u32_e64 s0, 0, v28
	v_max3_i32 v23, v29, v22, v11
	v_and_b32_e32 v29, 3, v43
	s_delay_alu instid0(VALU_DEP_3) | instskip(SKIP_1) | instid1(VALU_DEP_2)
	v_add_co_ci_u32_e64 v28, s0, 0, v11, s0
	v_cmp_eq_u32_e64 s0, 0, v30
	v_max3_i32 v28, v28, v23, v12
	s_delay_alu instid0(VALU_DEP_2) | instskip(SKIP_1) | instid1(VALU_DEP_2)
	v_add_co_ci_u32_e64 v30, s0, 0, v12, s0
	v_cmp_eq_u32_e64 s0, 0, v29
	v_max3_i32 v29, v30, v28, v13
	s_delay_alu instid0(VALU_DEP_2) | instskip(SKIP_1) | instid1(VALU_DEP_2)
	v_add_co_ci_u32_e64 v43, s0, 0, v13, s0
	v_cmp_eq_u32_e64 s0, 0, v31
	v_max3_i32 v30, v43, v29, v14
	s_delay_alu instid0(VALU_DEP_2) | instskip(SKIP_2) | instid1(VALU_DEP_3)
	v_add_co_ci_u32_e64 v31, s0, 0, v14, s0
	v_cmp_eq_u32_e64 s0, 0, v62
	v_add_nc_u32_e32 v62, 1, v58
	v_max3_i32 v31, v31, v30, v15
	s_delay_alu instid0(VALU_DEP_3)
	v_add_co_ci_u32_e64 v43, s0, 0, v15, s0
	s_movk_i32 s0, 0x2ef0
	s_clause 0x1
	scratch_store_b128 off, v[16:19], s0 offset:80
	scratch_store_b128 off, v[24:27], s0 offset:96
	v_max3_i32 v43, v43, v31, v60
	v_cmp_ne_u32_e64 s0, s1, v62
	s_clause 0x1
	scratch_store_b128 off, v[20:23], s13 offset:112
	scratch_store_b128 off, v[28:31], s13 offset:128
                                        ; implicit-def: $sgpr13
                                        ; implicit-def: $vgpr62
	scratch_store_b16 v80, v43, off offset:2
	s_and_saveexec_b32 s15, s0
	s_delay_alu instid0(SALU_CYCLE_1)
	s_xor_b32 s15, exec_lo, s15
	s_cbranch_execz .LBB13_39
; %bb.36:                               ;   in Loop: Header=BB13_35 Depth=3
	scratch_load_i16 v0, v81, off offset:4
	v_dual_mov_b32 v61, 0 :: v_dual_add_nc_u32 v62, -2, v63
	v_add_nc_u32_e32 v58, 2, v58
	s_movk_i32 s13, 0x2ef0
	s_delay_alu instid0(VALU_DEP_2) | instskip(SKIP_1) | instid1(VALU_DEP_2)
	v_lshrrev_b32_e32 v2, v62, v59
	v_bfe_u32 v1, v59, v62, 2
	v_xor_b32_e32 v3, v44, v2
	s_delay_alu instid0(VALU_DEP_2)
	v_cmp_eq_u32_e64 s0, v35, v1
	v_xor_b32_e32 v4, v45, v2
	v_xor_b32_e32 v5, v46, v2
	;; [unrolled: 1-line block ×3, first 2 shown]
	v_and_b32_e32 v3, 3, v3
	v_add_co_ci_u32_e64 v1, s0, 0, v16, s0
	v_xor_b32_e32 v7, v48, v2
	v_xor_b32_e32 v8, v49, v2
	s_delay_alu instid0(VALU_DEP_4)
	v_cmp_eq_u32_e64 s0, 0, v3
	v_xor_b32_e32 v9, v50, v2
	v_xor_b32_e32 v10, v51, v2
	;; [unrolled: 1-line block ×9, first 2 shown]
	v_and_b32_e32 v2, 3, v4
	v_add_co_ci_u32_e64 v3, s0, 0, v17, s0
	v_and_b32_e32 v4, 3, v5
	v_and_b32_e32 v6, 3, v6
	s_delay_alu instid0(VALU_DEP_4) | instskip(SKIP_3) | instid1(VALU_DEP_4)
	v_cmp_eq_u32_e64 s0, 0, v2
	v_and_b32_e32 v9, 3, v9
	v_and_b32_e32 v12, 3, v12
	;; [unrolled: 1-line block ×3, first 2 shown]
	v_add_co_ci_u32_e64 v5, s0, 0, v18, s0
	v_cmp_eq_u32_e64 s0, 0, v4
	s_delay_alu instid0(VALU_DEP_1) | instskip(SKIP_1) | instid1(VALU_DEP_1)
	v_add_co_ci_u32_e64 v4, s0, 0, v19, s0
	v_cmp_eq_u32_e64 s0, 0, v6
	v_add_co_ci_u32_e64 v6, s0, 0, v24, s0
	s_waitcnt vmcnt(0)
	v_max3_i32 v1, v1, v0, v17
	s_delay_alu instid0(VALU_DEP_1) | instskip(NEXT) | instid1(VALU_DEP_1)
	v_max3_i32 v2, v3, v1, v18
	v_max3_i32 v3, v5, v2, v19
	v_and_b32_e32 v5, 3, v7
	v_and_b32_e32 v7, 3, v8
	s_delay_alu instid0(VALU_DEP_3) | instskip(NEXT) | instid1(VALU_DEP_3)
	v_max3_i32 v4, v4, v3, v24
	v_cmp_eq_u32_e64 s0, 0, v5
	s_delay_alu instid0(VALU_DEP_2) | instskip(NEXT) | instid1(VALU_DEP_2)
	v_max3_i32 v5, v6, v4, v25
	v_add_co_ci_u32_e64 v8, s0, 0, v25, s0
	v_cmp_eq_u32_e64 s0, 0, v7
	s_delay_alu instid0(VALU_DEP_2) | instskip(SKIP_1) | instid1(VALU_DEP_3)
	v_max3_i32 v6, v8, v5, v26
	v_and_b32_e32 v8, 3, v10
	v_add_co_ci_u32_e64 v7, s0, 0, v26, s0
	v_cmp_eq_u32_e64 s0, 0, v9
	v_and_b32_e32 v10, 3, v11
	s_delay_alu instid0(VALU_DEP_3) | instskip(NEXT) | instid1(VALU_DEP_3)
	v_max3_i32 v7, v7, v6, v27
	v_add_co_ci_u32_e64 v9, s0, 0, v27, s0
	v_cmp_eq_u32_e64 s0, 0, v8
	s_delay_alu instid0(VALU_DEP_2) | instskip(NEXT) | instid1(VALU_DEP_2)
	v_max3_i32 v8, v9, v7, v20
	v_add_co_ci_u32_e64 v11, s0, 0, v20, s0
	v_cmp_eq_u32_e64 s0, 0, v10
	s_delay_alu instid0(VALU_DEP_2) | instskip(SKIP_1) | instid1(VALU_DEP_3)
	v_max3_i32 v9, v11, v8, v21
	v_and_b32_e32 v11, 3, v13
	v_add_co_ci_u32_e64 v10, s0, 0, v21, s0
	v_cmp_eq_u32_e64 s0, 0, v12
	v_and_b32_e32 v13, 3, v14
	s_delay_alu instid0(VALU_DEP_3) | instskip(NEXT) | instid1(VALU_DEP_3)
	v_max3_i32 v10, v10, v9, v22
	v_add_co_ci_u32_e64 v12, s0, 0, v22, s0
	;; [unrolled: 14-line block ×3, first 2 shown]
	v_cmp_eq_u32_e64 s0, 0, v14
	s_delay_alu instid0(VALU_DEP_2) | instskip(NEXT) | instid1(VALU_DEP_2)
	v_max3_i32 v14, v15, v13, v30
	v_add_co_ci_u32_e64 v17, s0, 0, v30, s0
	v_cmp_eq_u32_e64 s0, 0, v16
	s_delay_alu instid0(VALU_DEP_2) | instskip(NEXT) | instid1(VALU_DEP_2)
	v_max3_i32 v15, v17, v14, v31
	v_add_co_ci_u32_e64 v16, s0, 0, v31, s0
	s_movk_i32 s0, 0x2ef0
	s_clause 0x1
	scratch_store_b128 off, v[0:3], s0
	scratch_store_b128 off, v[4:7], s0 offset:16
	v_max3_i32 v60, v16, v15, v43
	v_cmp_eq_u32_e64 s0, s1, v58
	s_clause 0x1
	scratch_store_b128 off, v[8:11], s13 offset:32
	scratch_store_b128 off, v[12:15], s13 offset:48
	s_mov_b32 s13, -1
	scratch_store_b16 v80, v60, off offset:4
	s_and_saveexec_b32 s16, s0
	s_delay_alu instid0(SALU_CYCLE_1)
	s_xor_b32 s0, exec_lo, s16
; %bb.37:                               ;   in Loop: Header=BB13_35 Depth=3
	v_dual_mov_b32 v61, 26 :: v_dual_mov_b32 v58, s1
	s_xor_b32 s13, exec_lo, -1
	s_and_b32 s14, vcc_lo, exec_lo
; %bb.38:                               ;   in Loop: Header=BB13_35 Depth=3
	s_or_b32 exec_lo, exec_lo, s0
	v_mov_b32_e32 v82, v40
	s_and_b32 s13, s13, exec_lo
	s_and_b32 s14, s14, exec_lo
                                        ; implicit-def: $vgpr64
                                        ; implicit-def: $vgpr65
                                        ; implicit-def: $vgpr66
                                        ; implicit-def: $vgpr67
                                        ; implicit-def: $vgpr68
                                        ; implicit-def: $vgpr69
                                        ; implicit-def: $vgpr70
                                        ; implicit-def: $vgpr71
                                        ; implicit-def: $vgpr72
                                        ; implicit-def: $vgpr73
                                        ; implicit-def: $vgpr74
                                        ; implicit-def: $vgpr75
                                        ; implicit-def: $vgpr76
                                        ; implicit-def: $vgpr77
                                        ; implicit-def: $vgpr78
                                        ; implicit-def: $vgpr79
                                        ; implicit-def: $vgpr83
                                        ; implicit-def: $vgpr84
                                        ; implicit-def: $vgpr63
.LBB13_39:                              ;   in Loop: Header=BB13_35 Depth=3
	s_or_saveexec_b32 s0, s15
	v_dual_mov_b32 v17, v60 :: v_dual_mov_b32 v88, v2
	v_dual_mov_b32 v85, v60 :: v_dual_mov_b32 v92, v6
	;; [unrolled: 1-line block ×17, first 2 shown]
	v_mov_b32_e32 v31, v15
	s_xor_b32 exec_lo, exec_lo, s0
	s_cbranch_execz .LBB13_41
; %bb.40:                               ;   in Loop: Header=BB13_35 Depth=3
	v_dual_mov_b32 v61, 26 :: v_dual_mov_b32 v58, s1
	v_dual_mov_b32 v62, v63 :: v_dual_mov_b32 v17, v84
	;; [unrolled: 1-line block ×19, first 2 shown]
	v_mov_b32_e32 v80, v66
	s_and_not1_b32 s14, s14, exec_lo
	s_and_b32 s15, vcc_lo, exec_lo
	s_and_not1_b32 s13, s13, exec_lo
	s_or_b32 s14, s14, s15
	s_or_b32 exec_lo, exec_lo, s0
	s_and_saveexec_b32 s15, s14
	s_cbranch_execz .LBB13_43
	s_branch .LBB13_42
.LBB13_41:                              ;   in Loop: Header=BB13_35 Depth=3
	s_or_b32 exec_lo, exec_lo, s0
	s_and_saveexec_b32 s15, s14
	s_cbranch_execz .LBB13_43
.LBB13_42:                              ;   in Loop: Header=BB13_35 Depth=3
	scratch_load_b32 v16, v82, off
	v_dual_mov_b32 v58, s1 :: v_dual_mov_b32 v61, 1
	v_dual_mov_b32 v31, v101 :: v_dual_mov_b32 v80, v99
	;; [unrolled: 1-line block ×9, first 2 shown]
	s_and_not1_b32 s13, s13, exec_lo
	s_waitcnt vmcnt(0)
	v_cmp_ge_i32_e64 s0, v16, v39
	v_mov_b32_e32 v16, v85
	s_delay_alu instid0(VALU_DEP_2)
	v_cndmask_b32_e64 v63, -1, s2, s0
	global_store_b32 v[32:33], v63, off
.LBB13_43:                              ;   in Loop: Header=BB13_35 Depth=3
	s_or_b32 exec_lo, exec_lo, s15
	s_mov_b32 s0, -1
                                        ; implicit-def: $vgpr63
	s_and_saveexec_b32 s14, s13
	s_cbranch_execz .LBB13_34
; %bb.44:                               ;   in Loop: Header=BB13_35 Depth=3
	v_cmp_gt_i32_e64 s0, 2, v62
	v_add_nc_u32_e32 v63, -2, v62
	v_mov_b32_e32 v61, 26
	s_delay_alu instid0(VALU_DEP_3)
	s_or_not1_b32 s0, s0, exec_lo
	s_branch .LBB13_34
.LBB13_45:                              ;   in Loop: Header=BB13_33 Depth=2
	s_or_b32 exec_lo, exec_lo, s11
	s_mov_b32 s11, -1
	s_mov_b32 s13, exec_lo
	v_cmpx_eq_u32_e32 26, v61
	s_cbranch_execz .LBB13_32
; %bb.46:                               ;   in Loop: Header=BB13_33 Depth=2
	s_add_i32 s0, s10, 1
	s_cmp_eq_u32 s10, s3
	v_mov_b32_e32 v61, 23
	s_cselect_b32 s10, -1, 0
	s_delay_alu instid0(SALU_CYCLE_1)
	s_or_not1_b32 s11, s10, exec_lo
	s_mov_b32 s10, s0
	s_branch .LBB13_32
.LBB13_47:
	s_or_b32 exec_lo, exec_lo, s4
	s_movk_i32 s0, 0x2ef0
	s_clause 0x1
	scratch_store_b32 off, v43, s0 offset:144
	scratch_store_b32 off, v16, s0 offset:64
.LBB13_48:
	s_endpgm
	.section	.rodata,"a",@progbits
	.p2align	6, 0x0
	.amdhsa_kernel _Z12kernel_alignfPKiPKlPKjS0_iPii
		.amdhsa_group_segment_fixed_size 0
		.amdhsa_private_segment_fixed_size 12176
		.amdhsa_kernarg_size 320
		.amdhsa_user_sgpr_count 15
		.amdhsa_user_sgpr_dispatch_ptr 0
		.amdhsa_user_sgpr_queue_ptr 0
		.amdhsa_user_sgpr_kernarg_segment_ptr 1
		.amdhsa_user_sgpr_dispatch_id 0
		.amdhsa_user_sgpr_private_segment_size 0
		.amdhsa_wavefront_size32 1
		.amdhsa_uses_dynamic_stack 0
		.amdhsa_enable_private_segment 1
		.amdhsa_system_sgpr_workgroup_id_x 1
		.amdhsa_system_sgpr_workgroup_id_y 0
		.amdhsa_system_sgpr_workgroup_id_z 0
		.amdhsa_system_sgpr_workgroup_info 0
		.amdhsa_system_vgpr_workitem_id 0
		.amdhsa_next_free_vgpr 102
		.amdhsa_next_free_sgpr 17
		.amdhsa_reserve_vcc 1
		.amdhsa_float_round_mode_32 0
		.amdhsa_float_round_mode_16_64 0
		.amdhsa_float_denorm_mode_32 3
		.amdhsa_float_denorm_mode_16_64 3
		.amdhsa_dx10_clamp 1
		.amdhsa_ieee_mode 1
		.amdhsa_fp16_overflow 0
		.amdhsa_workgroup_processor_mode 1
		.amdhsa_memory_ordered 1
		.amdhsa_forward_progress 0
		.amdhsa_shared_vgpr_count 0
		.amdhsa_exception_fp_ieee_invalid_op 0
		.amdhsa_exception_fp_denorm_src 0
		.amdhsa_exception_fp_ieee_div_zero 0
		.amdhsa_exception_fp_ieee_overflow 0
		.amdhsa_exception_fp_ieee_underflow 0
		.amdhsa_exception_fp_ieee_inexact 0
		.amdhsa_exception_int_div_zero 0
	.end_amdhsa_kernel
	.text
.Lfunc_end13:
	.size	_Z12kernel_alignfPKiPKlPKjS0_iPii, .Lfunc_end13-_Z12kernel_alignfPKiPKlPKjS0_iPii
                                        ; -- End function
	.section	.AMDGPU.csdata,"",@progbits
; Kernel info:
; codeLenInByte = 5972
; NumSgprs: 19
; NumVgprs: 102
; ScratchSize: 12176
; MemoryBound: 0
; FloatMode: 240
; IeeeMode: 1
; LDSByteSize: 0 bytes/workgroup (compile time only)
; SGPRBlocks: 2
; VGPRBlocks: 12
; NumSGPRsForWavesPerEU: 19
; NumVGPRsForWavesPerEU: 102
; Occupancy: 12
; WaveLimiterHint : 1
; COMPUTE_PGM_RSRC2:SCRATCH_EN: 1
; COMPUTE_PGM_RSRC2:USER_SGPR: 15
; COMPUTE_PGM_RSRC2:TRAP_HANDLER: 0
; COMPUTE_PGM_RSRC2:TGID_X_EN: 1
; COMPUTE_PGM_RSRC2:TGID_Y_EN: 0
; COMPUTE_PGM_RSRC2:TGID_Z_EN: 0
; COMPUTE_PGM_RSRC2:TIDIG_COMP_CNT: 0
	.text
	.p2alignl 7, 3214868480
	.fill 96, 4, 3214868480
	.type	__hip_cuid_bd92055f6bb99212,@object ; @__hip_cuid_bd92055f6bb99212
	.section	.bss,"aw",@nobits
	.globl	__hip_cuid_bd92055f6bb99212
__hip_cuid_bd92055f6bb99212:
	.byte	0                               ; 0x0
	.size	__hip_cuid_bd92055f6bb99212, 1

	.ident	"AMD clang version 19.0.0git (https://github.com/RadeonOpenCompute/llvm-project roc-6.4.0 25133 c7fe45cf4b819c5991fe208aaa96edf142730f1d)"
	.section	".note.GNU-stack","",@progbits
	.addrsig
	.addrsig_sym __hip_cuid_bd92055f6bb99212
	.amdgpu_metadata
---
amdhsa.kernels:
  - .args:
      - .address_space:  global
        .offset:         0
        .size:           8
        .value_kind:     global_buffer
      - .offset:         8
        .size:           8
        .value_kind:     by_value
      - .offset:         16
        .size:           4
        .value_kind:     hidden_block_count_x
      - .offset:         20
        .size:           4
        .value_kind:     hidden_block_count_y
      - .offset:         24
        .size:           4
        .value_kind:     hidden_block_count_z
      - .offset:         28
        .size:           2
        .value_kind:     hidden_group_size_x
      - .offset:         30
        .size:           2
        .value_kind:     hidden_group_size_y
      - .offset:         32
        .size:           2
        .value_kind:     hidden_group_size_z
      - .offset:         34
        .size:           2
        .value_kind:     hidden_remainder_x
      - .offset:         36
        .size:           2
        .value_kind:     hidden_remainder_y
      - .offset:         38
        .size:           2
        .value_kind:     hidden_remainder_z
      - .offset:         56
        .size:           8
        .value_kind:     hidden_global_offset_x
      - .offset:         64
        .size:           8
        .value_kind:     hidden_global_offset_y
      - .offset:         72
        .size:           8
        .value_kind:     hidden_global_offset_z
      - .offset:         80
        .size:           2
        .value_kind:     hidden_grid_dims
    .group_segment_fixed_size: 0
    .kernarg_segment_align: 8
    .kernarg_segment_size: 272
    .language:       OpenCL C
    .language_version:
      - 2
      - 0
    .max_flat_workgroup_size: 1024
    .name:           _Z19kernel_baseToNumberPcl
    .private_segment_fixed_size: 0
    .sgpr_count:     18
    .sgpr_spill_count: 0
    .symbol:         _Z19kernel_baseToNumberPcl.kd
    .uniform_work_group_size: 1
    .uses_dynamic_stack: false
    .vgpr_count:     6
    .vgpr_spill_count: 0
    .wavefront_size: 32
    .workgroup_processor_mode: 1
  - .args:
      - .address_space:  global
        .offset:         0
        .size:           8
        .value_kind:     global_buffer
      - .address_space:  global
        .offset:         8
        .size:           8
        .value_kind:     global_buffer
      - .address_space:  global
        .offset:         16
        .size:           8
        .value_kind:     global_buffer
      - .address_space:  global
        .offset:         24
        .size:           8
        .value_kind:     global_buffer
      - .address_space:  global
        .offset:         32
        .size:           8
        .value_kind:     global_buffer
      - .offset:         40
        .size:           4
        .value_kind:     by_value
      - .offset:         48
        .size:           4
        .value_kind:     hidden_block_count_x
      - .offset:         52
        .size:           4
        .value_kind:     hidden_block_count_y
      - .offset:         56
        .size:           4
        .value_kind:     hidden_block_count_z
      - .offset:         60
        .size:           2
        .value_kind:     hidden_group_size_x
      - .offset:         62
        .size:           2
        .value_kind:     hidden_group_size_y
      - .offset:         64
        .size:           2
        .value_kind:     hidden_group_size_z
      - .offset:         66
        .size:           2
        .value_kind:     hidden_remainder_x
      - .offset:         68
        .size:           2
        .value_kind:     hidden_remainder_y
      - .offset:         70
        .size:           2
        .value_kind:     hidden_remainder_z
      - .offset:         88
        .size:           8
        .value_kind:     hidden_global_offset_x
      - .offset:         96
        .size:           8
        .value_kind:     hidden_global_offset_y
      - .offset:         104
        .size:           8
        .value_kind:     hidden_global_offset_z
      - .offset:         112
        .size:           2
        .value_kind:     hidden_grid_dims
    .group_segment_fixed_size: 0
    .kernarg_segment_align: 8
    .kernarg_segment_size: 304
    .language:       OpenCL C
    .language_version:
      - 2
      - 0
    .max_flat_workgroup_size: 1024
    .name:           _Z19kernel_compressDataPKiPKlPKcPjPii
    .private_segment_fixed_size: 0
    .sgpr_count:     18
    .sgpr_spill_count: 0
    .symbol:         _Z19kernel_compressDataPKiPKlPKcPjPii.kd
    .uniform_work_group_size: 1
    .uses_dynamic_stack: false
    .vgpr_count:     14
    .vgpr_spill_count: 0
    .wavefront_size: 32
    .workgroup_processor_mode: 1
  - .args:
      - .address_space:  global
        .offset:         0
        .size:           8
        .value_kind:     global_buffer
      - .address_space:  global
        .offset:         8
        .size:           8
        .value_kind:     global_buffer
      - .address_space:  global
        .offset:         16
        .size:           8
        .value_kind:     global_buffer
      - .address_space:  global
        .offset:         24
        .size:           8
        .value_kind:     global_buffer
      - .address_space:  global
        .offset:         32
        .size:           8
        .value_kind:     global_buffer
      - .address_space:  global
        .offset:         40
        .size:           8
        .value_kind:     global_buffer
      - .address_space:  global
        .offset:         48
        .size:           8
        .value_kind:     global_buffer
      - .offset:         56
        .size:           4
        .value_kind:     by_value
      - .offset:         64
        .size:           4
        .value_kind:     hidden_block_count_x
      - .offset:         68
        .size:           4
        .value_kind:     hidden_block_count_y
      - .offset:         72
        .size:           4
        .value_kind:     hidden_block_count_z
      - .offset:         76
        .size:           2
        .value_kind:     hidden_group_size_x
      - .offset:         78
        .size:           2
        .value_kind:     hidden_group_size_y
      - .offset:         80
        .size:           2
        .value_kind:     hidden_group_size_z
      - .offset:         82
        .size:           2
        .value_kind:     hidden_remainder_x
      - .offset:         84
        .size:           2
        .value_kind:     hidden_remainder_y
      - .offset:         86
        .size:           2
        .value_kind:     hidden_remainder_z
      - .offset:         104
        .size:           8
        .value_kind:     hidden_global_offset_x
      - .offset:         112
        .size:           8
        .value_kind:     hidden_global_offset_y
      - .offset:         120
        .size:           8
        .value_kind:     hidden_global_offset_z
      - .offset:         128
        .size:           2
        .value_kind:     hidden_grid_dims
    .group_segment_fixed_size: 0
    .kernarg_segment_align: 8
    .kernarg_segment_size: 320
    .language:       OpenCL C
    .language_version:
      - 2
      - 0
    .max_flat_workgroup_size: 1024
    .name:           _Z19kernel_createIndex4PKcPKiPKlPtS5_PlPii
    .private_segment_fixed_size: 0
    .sgpr_count:     18
    .sgpr_spill_count: 0
    .symbol:         _Z19kernel_createIndex4PKcPKiPKlPtS5_PlPii.kd
    .uniform_work_group_size: 1
    .uses_dynamic_stack: false
    .vgpr_count:     24
    .vgpr_spill_count: 0
    .wavefront_size: 32
    .workgroup_processor_mode: 1
  - .args:
      - .address_space:  global
        .offset:         0
        .size:           8
        .value_kind:     global_buffer
      - .address_space:  global
        .offset:         8
        .size:           8
        .value_kind:     global_buffer
      - .address_space:  global
        .offset:         16
        .size:           8
        .value_kind:     global_buffer
      - .address_space:  global
        .offset:         24
        .size:           8
        .value_kind:     global_buffer
      - .address_space:  global
        .offset:         32
        .size:           8
        .value_kind:     global_buffer
      - .address_space:  global
        .offset:         40
        .size:           8
        .value_kind:     global_buffer
      - .address_space:  global
        .offset:         48
        .size:           8
        .value_kind:     global_buffer
      - .offset:         56
        .size:           4
        .value_kind:     by_value
      - .offset:         64
        .size:           4
        .value_kind:     hidden_block_count_x
      - .offset:         68
        .size:           4
        .value_kind:     hidden_block_count_y
      - .offset:         72
        .size:           4
        .value_kind:     hidden_block_count_z
      - .offset:         76
        .size:           2
        .value_kind:     hidden_group_size_x
      - .offset:         78
        .size:           2
        .value_kind:     hidden_group_size_y
      - .offset:         80
        .size:           2
        .value_kind:     hidden_group_size_z
      - .offset:         82
        .size:           2
        .value_kind:     hidden_remainder_x
      - .offset:         84
        .size:           2
        .value_kind:     hidden_remainder_y
      - .offset:         86
        .size:           2
        .value_kind:     hidden_remainder_z
      - .offset:         104
        .size:           8
        .value_kind:     hidden_global_offset_x
      - .offset:         112
        .size:           8
        .value_kind:     hidden_global_offset_y
      - .offset:         120
        .size:           8
        .value_kind:     hidden_global_offset_z
      - .offset:         128
        .size:           2
        .value_kind:     hidden_grid_dims
    .group_segment_fixed_size: 0
    .kernarg_segment_align: 8
    .kernarg_segment_size: 320
    .language:       OpenCL C
    .language_version:
      - 2
      - 0
    .max_flat_workgroup_size: 1024
    .name:           _Z19kernel_createIndex5PKcPKiPKlPtS5_PlPii
    .private_segment_fixed_size: 0
    .sgpr_count:     18
    .sgpr_spill_count: 0
    .symbol:         _Z19kernel_createIndex5PKcPKiPKlPtS5_PlPii.kd
    .uniform_work_group_size: 1
    .uses_dynamic_stack: false
    .vgpr_count:     29
    .vgpr_spill_count: 0
    .wavefront_size: 32
    .workgroup_processor_mode: 1
  - .args:
      - .address_space:  global
        .offset:         0
        .size:           8
        .value_kind:     global_buffer
      - .address_space:  global
        .offset:         8
        .size:           8
        .value_kind:     global_buffer
      - .address_space:  global
        .offset:         16
        .size:           8
        .value_kind:     global_buffer
      - .address_space:  global
        .offset:         24
        .size:           8
        .value_kind:     global_buffer
      - .address_space:  global
        .offset:         32
        .size:           8
        .value_kind:     global_buffer
      - .address_space:  global
        .offset:         40
        .size:           8
        .value_kind:     global_buffer
      - .address_space:  global
        .offset:         48
        .size:           8
        .value_kind:     global_buffer
      - .offset:         56
        .size:           4
        .value_kind:     by_value
      - .offset:         64
        .size:           4
        .value_kind:     hidden_block_count_x
      - .offset:         68
        .size:           4
        .value_kind:     hidden_block_count_y
      - .offset:         72
        .size:           4
        .value_kind:     hidden_block_count_z
      - .offset:         76
        .size:           2
        .value_kind:     hidden_group_size_x
      - .offset:         78
        .size:           2
        .value_kind:     hidden_group_size_y
      - .offset:         80
        .size:           2
        .value_kind:     hidden_group_size_z
      - .offset:         82
        .size:           2
        .value_kind:     hidden_remainder_x
      - .offset:         84
        .size:           2
        .value_kind:     hidden_remainder_y
      - .offset:         86
        .size:           2
        .value_kind:     hidden_remainder_z
      - .offset:         104
        .size:           8
        .value_kind:     hidden_global_offset_x
      - .offset:         112
        .size:           8
        .value_kind:     hidden_global_offset_y
      - .offset:         120
        .size:           8
        .value_kind:     hidden_global_offset_z
      - .offset:         128
        .size:           2
        .value_kind:     hidden_grid_dims
    .group_segment_fixed_size: 0
    .kernarg_segment_align: 8
    .kernarg_segment_size: 320
    .language:       OpenCL C
    .language_version:
      - 2
      - 0
    .max_flat_workgroup_size: 1024
    .name:           _Z19kernel_createIndex6PKcPKiPKlPtS5_PlPii
    .private_segment_fixed_size: 0
    .sgpr_count:     18
    .sgpr_spill_count: 0
    .symbol:         _Z19kernel_createIndex6PKcPKiPKlPtS5_PlPii.kd
    .uniform_work_group_size: 1
    .uses_dynamic_stack: false
    .vgpr_count:     31
    .vgpr_spill_count: 0
    .wavefront_size: 32
    .workgroup_processor_mode: 1
  - .args:
      - .address_space:  global
        .offset:         0
        .size:           8
        .value_kind:     global_buffer
      - .address_space:  global
        .offset:         8
        .size:           8
        .value_kind:     global_buffer
      - .address_space:  global
        .offset:         16
        .size:           8
        .value_kind:     global_buffer
      - .address_space:  global
        .offset:         24
        .size:           8
        .value_kind:     global_buffer
      - .address_space:  global
        .offset:         32
        .size:           8
        .value_kind:     global_buffer
      - .address_space:  global
        .offset:         40
        .size:           8
        .value_kind:     global_buffer
      - .address_space:  global
        .offset:         48
        .size:           8
        .value_kind:     global_buffer
      - .offset:         56
        .size:           4
        .value_kind:     by_value
      - .offset:         64
        .size:           4
        .value_kind:     hidden_block_count_x
      - .offset:         68
        .size:           4
        .value_kind:     hidden_block_count_y
      - .offset:         72
        .size:           4
        .value_kind:     hidden_block_count_z
      - .offset:         76
        .size:           2
        .value_kind:     hidden_group_size_x
      - .offset:         78
        .size:           2
        .value_kind:     hidden_group_size_y
      - .offset:         80
        .size:           2
        .value_kind:     hidden_group_size_z
      - .offset:         82
        .size:           2
        .value_kind:     hidden_remainder_x
      - .offset:         84
        .size:           2
        .value_kind:     hidden_remainder_y
      - .offset:         86
        .size:           2
        .value_kind:     hidden_remainder_z
      - .offset:         104
        .size:           8
        .value_kind:     hidden_global_offset_x
      - .offset:         112
        .size:           8
        .value_kind:     hidden_global_offset_y
      - .offset:         120
        .size:           8
        .value_kind:     hidden_global_offset_z
      - .offset:         128
        .size:           2
        .value_kind:     hidden_grid_dims
    .group_segment_fixed_size: 0
    .kernarg_segment_align: 8
    .kernarg_segment_size: 320
    .language:       OpenCL C
    .language_version:
      - 2
      - 0
    .max_flat_workgroup_size: 1024
    .name:           _Z19kernel_createIndex7PKcPKiPKlPtS5_PlPii
    .private_segment_fixed_size: 0
    .sgpr_count:     18
    .sgpr_spill_count: 0
    .symbol:         _Z19kernel_createIndex7PKcPKiPKlPtS5_PlPii.kd
    .uniform_work_group_size: 1
    .uses_dynamic_stack: false
    .vgpr_count:     34
    .vgpr_spill_count: 0
    .wavefront_size: 32
    .workgroup_processor_mode: 1
  - .args:
      - .offset:         0
        .size:           4
        .value_kind:     by_value
      - .offset:         4
        .size:           4
        .value_kind:     by_value
      - .address_space:  global
        .offset:         8
        .size:           8
        .value_kind:     global_buffer
      - .address_space:  global
        .offset:         16
        .size:           8
        .value_kind:     global_buffer
      - .address_space:  global
        .offset:         24
        .size:           8
        .value_kind:     global_buffer
      - .offset:         32
        .size:           4
        .value_kind:     by_value
      - .offset:         40
        .size:           4
        .value_kind:     hidden_block_count_x
      - .offset:         44
        .size:           4
        .value_kind:     hidden_block_count_y
      - .offset:         48
        .size:           4
        .value_kind:     hidden_block_count_z
      - .offset:         52
        .size:           2
        .value_kind:     hidden_group_size_x
      - .offset:         54
        .size:           2
        .value_kind:     hidden_group_size_y
      - .offset:         56
        .size:           2
        .value_kind:     hidden_group_size_z
      - .offset:         58
        .size:           2
        .value_kind:     hidden_remainder_x
      - .offset:         60
        .size:           2
        .value_kind:     hidden_remainder_y
      - .offset:         62
        .size:           2
        .value_kind:     hidden_remainder_z
      - .offset:         80
        .size:           8
        .value_kind:     hidden_global_offset_x
      - .offset:         88
        .size:           8
        .value_kind:     hidden_global_offset_y
      - .offset:         96
        .size:           8
        .value_kind:     hidden_global_offset_z
      - .offset:         104
        .size:           2
        .value_kind:     hidden_grid_dims
    .group_segment_fixed_size: 0
    .kernarg_segment_align: 8
    .kernarg_segment_size: 296
    .language:       OpenCL C
    .language_version:
      - 2
      - 0
    .max_flat_workgroup_size: 1024
    .name:           _Z19kernel_createCutofffiPKiPlPii
    .private_segment_fixed_size: 0
    .sgpr_count:     18
    .sgpr_spill_count: 0
    .symbol:         _Z19kernel_createCutofffiPKiPlPii.kd
    .uniform_work_group_size: 1
    .uses_dynamic_stack: false
    .vgpr_count:     6
    .vgpr_spill_count: 0
    .wavefront_size: 32
    .workgroup_processor_mode: 1
  - .args:
      - .address_space:  global
        .offset:         0
        .size:           8
        .value_kind:     global_buffer
      - .address_space:  global
        .offset:         8
        .size:           8
        .value_kind:     global_buffer
      - .address_space:  global
        .offset:         16
        .size:           8
        .value_kind:     global_buffer
      - .address_space:  global
        .offset:         24
        .size:           8
        .value_kind:     global_buffer
      - .offset:         32
        .size:           4
        .value_kind:     by_value
      - .offset:         40
        .size:           4
        .value_kind:     hidden_block_count_x
      - .offset:         44
        .size:           4
        .value_kind:     hidden_block_count_y
      - .offset:         48
        .size:           4
        .value_kind:     hidden_block_count_z
      - .offset:         52
        .size:           2
        .value_kind:     hidden_group_size_x
      - .offset:         54
        .size:           2
        .value_kind:     hidden_group_size_y
      - .offset:         56
        .size:           2
        .value_kind:     hidden_group_size_z
      - .offset:         58
        .size:           2
        .value_kind:     hidden_remainder_x
      - .offset:         60
        .size:           2
        .value_kind:     hidden_remainder_y
      - .offset:         62
        .size:           2
        .value_kind:     hidden_remainder_z
      - .offset:         80
        .size:           8
        .value_kind:     hidden_global_offset_x
      - .offset:         88
        .size:           8
        .value_kind:     hidden_global_offset_y
      - .offset:         96
        .size:           8
        .value_kind:     hidden_global_offset_z
      - .offset:         104
        .size:           2
        .value_kind:     hidden_grid_dims
    .group_segment_fixed_size: 0
    .kernarg_segment_align: 8
    .kernarg_segment_size: 296
    .language:       OpenCL C
    .language_version:
      - 2
      - 0
    .max_flat_workgroup_size: 1024
    .name:           _Z17kernel_mergeIndexPKlPKtPtS0_i
    .private_segment_fixed_size: 0
    .sgpr_count:     18
    .sgpr_spill_count: 0
    .symbol:         _Z17kernel_mergeIndexPKlPKtPtS0_i.kd
    .uniform_work_group_size: 1
    .uses_dynamic_stack: false
    .vgpr_count:     11
    .vgpr_spill_count: 0
    .wavefront_size: 32
    .workgroup_processor_mode: 1
  - .args:
      - .address_space:  global
        .offset:         0
        .size:           8
        .value_kind:     global_buffer
      - .address_space:  global
        .offset:         8
        .size:           8
        .value_kind:     global_buffer
      - .offset:         16
        .size:           4
        .value_kind:     by_value
    .group_segment_fixed_size: 0
    .kernarg_segment_align: 8
    .kernarg_segment_size: 20
    .language:       OpenCL C
    .language_version:
      - 2
      - 0
    .max_flat_workgroup_size: 1024
    .name:           _Z27kernel_updateRepresentativePiS_i
    .private_segment_fixed_size: 0
    .sgpr_count:     12
    .sgpr_spill_count: 0
    .symbol:         _Z27kernel_updateRepresentativePiS_i.kd
    .uniform_work_group_size: 1
    .uses_dynamic_stack: false
    .vgpr_count:     2
    .vgpr_spill_count: 0
    .wavefront_size: 32
    .workgroup_processor_mode: 1
  - .args:
      - .address_space:  global
        .offset:         0
        .size:           8
        .value_kind:     global_buffer
      - .address_space:  global
        .offset:         8
        .size:           8
        .value_kind:     global_buffer
      - .address_space:  global
        .offset:         16
        .size:           8
        .value_kind:     global_buffer
      - .address_space:  global
        .offset:         24
        .size:           8
        .value_kind:     global_buffer
      - .address_space:  global
        .offset:         32
        .size:           8
        .value_kind:     global_buffer
      - .offset:         40
        .size:           4
        .value_kind:     by_value
      - .offset:         48
        .size:           4
        .value_kind:     hidden_block_count_x
      - .offset:         52
        .size:           4
        .value_kind:     hidden_block_count_y
      - .offset:         56
        .size:           4
        .value_kind:     hidden_block_count_z
      - .offset:         60
        .size:           2
        .value_kind:     hidden_group_size_x
      - .offset:         62
        .size:           2
        .value_kind:     hidden_group_size_y
      - .offset:         64
        .size:           2
        .value_kind:     hidden_group_size_z
      - .offset:         66
        .size:           2
        .value_kind:     hidden_remainder_x
      - .offset:         68
        .size:           2
        .value_kind:     hidden_remainder_y
      - .offset:         70
        .size:           2
        .value_kind:     hidden_remainder_z
      - .offset:         88
        .size:           8
        .value_kind:     hidden_global_offset_x
      - .offset:         96
        .size:           8
        .value_kind:     hidden_global_offset_y
      - .offset:         104
        .size:           8
        .value_kind:     hidden_global_offset_z
      - .offset:         112
        .size:           2
        .value_kind:     hidden_grid_dims
    .group_segment_fixed_size: 0
    .kernarg_segment_align: 8
    .kernarg_segment_size: 304
    .language:       OpenCL C
    .language_version:
      - 2
      - 0
    .max_flat_workgroup_size: 1024
    .name:           _Z16kernel_makeTablePKlPKtS2_S0_Pti
    .private_segment_fixed_size: 0
    .sgpr_count:     18
    .sgpr_spill_count: 0
    .symbol:         _Z16kernel_makeTablePKlPKtS2_S0_Pti.kd
    .uniform_work_group_size: 1
    .uses_dynamic_stack: false
    .vgpr_count:     7
    .vgpr_spill_count: 0
    .wavefront_size: 32
    .workgroup_processor_mode: 1
  - .args:
      - .address_space:  global
        .offset:         0
        .size:           8
        .value_kind:     global_buffer
      - .address_space:  global
        .offset:         8
        .size:           8
        .value_kind:     global_buffer
      - .address_space:  global
        .offset:         16
        .size:           8
        .value_kind:     global_buffer
      - .address_space:  global
        .offset:         24
        .size:           8
        .value_kind:     global_buffer
      - .address_space:  global
        .offset:         32
        .size:           8
        .value_kind:     global_buffer
      - .offset:         40
        .size:           4
        .value_kind:     by_value
      - .offset:         48
        .size:           4
        .value_kind:     hidden_block_count_x
      - .offset:         52
        .size:           4
        .value_kind:     hidden_block_count_y
      - .offset:         56
        .size:           4
        .value_kind:     hidden_block_count_z
      - .offset:         60
        .size:           2
        .value_kind:     hidden_group_size_x
      - .offset:         62
        .size:           2
        .value_kind:     hidden_group_size_y
      - .offset:         64
        .size:           2
        .value_kind:     hidden_group_size_z
      - .offset:         66
        .size:           2
        .value_kind:     hidden_remainder_x
      - .offset:         68
        .size:           2
        .value_kind:     hidden_remainder_y
      - .offset:         70
        .size:           2
        .value_kind:     hidden_remainder_z
      - .offset:         88
        .size:           8
        .value_kind:     hidden_global_offset_x
      - .offset:         96
        .size:           8
        .value_kind:     hidden_global_offset_y
      - .offset:         104
        .size:           8
        .value_kind:     hidden_global_offset_z
      - .offset:         112
        .size:           2
        .value_kind:     hidden_grid_dims
    .group_segment_fixed_size: 0
    .kernarg_segment_align: 8
    .kernarg_segment_size: 304
    .language:       OpenCL C
    .language_version:
      - 2
      - 0
    .max_flat_workgroup_size: 1024
    .name:           _Z17kernel_cleanTablePKlPKtS2_S0_Pti
    .private_segment_fixed_size: 0
    .sgpr_count:     18
    .sgpr_spill_count: 0
    .symbol:         _Z17kernel_cleanTablePKlPKtS2_S0_Pti.kd
    .uniform_work_group_size: 1
    .uses_dynamic_stack: false
    .vgpr_count:     7
    .vgpr_spill_count: 0
    .wavefront_size: 32
    .workgroup_processor_mode: 1
  - .args:
      - .offset:         0
        .size:           4
        .value_kind:     by_value
      - .address_space:  global
        .offset:         8
        .size:           8
        .value_kind:     global_buffer
      - .address_space:  global
        .offset:         16
        .size:           8
        .value_kind:     global_buffer
      - .address_space:  global
        .offset:         24
        .size:           8
        .value_kind:     global_buffer
      - .offset:         32
        .size:           4
        .value_kind:     by_value
      - .offset:         36
        .size:           4
        .value_kind:     by_value
      - .offset:         40
        .size:           4
        .value_kind:     hidden_block_count_x
      - .offset:         44
        .size:           4
        .value_kind:     hidden_block_count_y
      - .offset:         48
        .size:           4
        .value_kind:     hidden_block_count_z
      - .offset:         52
        .size:           2
        .value_kind:     hidden_group_size_x
      - .offset:         54
        .size:           2
        .value_kind:     hidden_group_size_y
      - .offset:         56
        .size:           2
        .value_kind:     hidden_group_size_z
      - .offset:         58
        .size:           2
        .value_kind:     hidden_remainder_x
      - .offset:         60
        .size:           2
        .value_kind:     hidden_remainder_y
      - .offset:         62
        .size:           2
        .value_kind:     hidden_remainder_z
      - .offset:         80
        .size:           8
        .value_kind:     hidden_global_offset_x
      - .offset:         88
        .size:           8
        .value_kind:     hidden_global_offset_y
      - .offset:         96
        .size:           8
        .value_kind:     hidden_global_offset_z
      - .offset:         104
        .size:           2
        .value_kind:     hidden_grid_dims
    .group_segment_fixed_size: 0
    .kernarg_segment_align: 8
    .kernarg_segment_size: 296
    .language:       OpenCL C
    .language_version:
      - 2
      - 0
    .max_flat_workgroup_size: 1024
    .name:           _Z12kernel_magicfPKiS0_Piii
    .private_segment_fixed_size: 0
    .sgpr_count:     18
    .sgpr_spill_count: 0
    .symbol:         _Z12kernel_magicfPKiS0_Piii.kd
    .uniform_work_group_size: 1
    .uses_dynamic_stack: false
    .vgpr_count:     7
    .vgpr_spill_count: 0
    .wavefront_size: 32
    .workgroup_processor_mode: 1
  - .args:
      - .offset:         0
        .size:           4
        .value_kind:     by_value
      - .offset:         4
        .size:           4
        .value_kind:     by_value
      - .address_space:  global
        .offset:         8
        .size:           8
        .value_kind:     global_buffer
      - .address_space:  global
        .offset:         16
        .size:           8
        .value_kind:     global_buffer
      - .address_space:  global
        .offset:         24
        .size:           8
        .value_kind:     global_buffer
      - .address_space:  global
        .offset:         32
        .size:           8
        .value_kind:     global_buffer
      - .address_space:  global
        .offset:         40
        .size:           8
        .value_kind:     global_buffer
      - .address_space:  global
        .offset:         48
        .size:           8
        .value_kind:     global_buffer
      - .address_space:  global
        .offset:         56
        .size:           8
        .value_kind:     global_buffer
      - .address_space:  global
        .offset:         64
        .size:           8
        .value_kind:     global_buffer
      - .offset:         72
        .size:           4
        .value_kind:     by_value
    .group_segment_fixed_size: 512
    .kernarg_segment_align: 8
    .kernarg_segment_size: 76
    .language:       OpenCL C
    .language_version:
      - 2
      - 0
    .max_flat_workgroup_size: 1024
    .name:           _Z13kernel_filterfiPKiPKlPKtS4_S2_S0_PiS4_i
    .private_segment_fixed_size: 0
    .sgpr_count:     24
    .sgpr_spill_count: 0
    .symbol:         _Z13kernel_filterfiPKiPKlPKtS4_S2_S0_PiS4_i.kd
    .uniform_work_group_size: 1
    .uses_dynamic_stack: false
    .vgpr_count:     10
    .vgpr_spill_count: 0
    .wavefront_size: 32
    .workgroup_processor_mode: 1
  - .args:
      - .offset:         0
        .size:           4
        .value_kind:     by_value
      - .address_space:  global
        .offset:         8
        .size:           8
        .value_kind:     global_buffer
      - .address_space:  global
        .offset:         16
        .size:           8
        .value_kind:     global_buffer
      - .address_space:  global
        .offset:         24
        .size:           8
        .value_kind:     global_buffer
      - .address_space:  global
        .offset:         32
        .size:           8
        .value_kind:     global_buffer
      - .offset:         40
        .size:           4
        .value_kind:     by_value
      - .address_space:  global
        .offset:         48
        .size:           8
        .value_kind:     global_buffer
      - .offset:         56
        .size:           4
        .value_kind:     by_value
      - .offset:         64
        .size:           4
        .value_kind:     hidden_block_count_x
      - .offset:         68
        .size:           4
        .value_kind:     hidden_block_count_y
      - .offset:         72
        .size:           4
        .value_kind:     hidden_block_count_z
      - .offset:         76
        .size:           2
        .value_kind:     hidden_group_size_x
      - .offset:         78
        .size:           2
        .value_kind:     hidden_group_size_y
      - .offset:         80
        .size:           2
        .value_kind:     hidden_group_size_z
      - .offset:         82
        .size:           2
        .value_kind:     hidden_remainder_x
      - .offset:         84
        .size:           2
        .value_kind:     hidden_remainder_y
      - .offset:         86
        .size:           2
        .value_kind:     hidden_remainder_z
      - .offset:         104
        .size:           8
        .value_kind:     hidden_global_offset_x
      - .offset:         112
        .size:           8
        .value_kind:     hidden_global_offset_y
      - .offset:         120
        .size:           8
        .value_kind:     hidden_global_offset_z
      - .offset:         128
        .size:           2
        .value_kind:     hidden_grid_dims
    .group_segment_fixed_size: 0
    .kernarg_segment_align: 8
    .kernarg_segment_size: 320
    .language:       OpenCL C
    .language_version:
      - 2
      - 0
    .max_flat_workgroup_size: 1024
    .name:           _Z12kernel_alignfPKiPKlPKjS0_iPii
    .private_segment_fixed_size: 12176
    .sgpr_count:     19
    .sgpr_spill_count: 0
    .symbol:         _Z12kernel_alignfPKiPKlPKjS0_iPii.kd
    .uniform_work_group_size: 1
    .uses_dynamic_stack: false
    .vgpr_count:     102
    .vgpr_spill_count: 0
    .wavefront_size: 32
    .workgroup_processor_mode: 1
amdhsa.target:   amdgcn-amd-amdhsa--gfx1100
amdhsa.version:
  - 1
  - 2
...

	.end_amdgpu_metadata
